;; amdgpu-corpus repo=ROCm/rocFFT kind=compiled arch=gfx1201 opt=O3
	.text
	.amdgcn_target "amdgcn-amd-amdhsa--gfx1201"
	.amdhsa_code_object_version 6
	.protected	fft_rtc_back_len1377_factors_17_3_9_3_wgs_51_tpt_51_halfLds_dp_op_CI_CI_unitstride_sbrr_dirReg ; -- Begin function fft_rtc_back_len1377_factors_17_3_9_3_wgs_51_tpt_51_halfLds_dp_op_CI_CI_unitstride_sbrr_dirReg
	.globl	fft_rtc_back_len1377_factors_17_3_9_3_wgs_51_tpt_51_halfLds_dp_op_CI_CI_unitstride_sbrr_dirReg
	.p2align	8
	.type	fft_rtc_back_len1377_factors_17_3_9_3_wgs_51_tpt_51_halfLds_dp_op_CI_CI_unitstride_sbrr_dirReg,@function
fft_rtc_back_len1377_factors_17_3_9_3_wgs_51_tpt_51_halfLds_dp_op_CI_CI_unitstride_sbrr_dirReg: ; @fft_rtc_back_len1377_factors_17_3_9_3_wgs_51_tpt_51_halfLds_dp_op_CI_CI_unitstride_sbrr_dirReg
; %bb.0:
	s_clause 0x2
	s_load_b128 s[8:11], s[0:1], 0x0
	s_load_b128 s[4:7], s[0:1], 0x58
	;; [unrolled: 1-line block ×3, first 2 shown]
	v_mul_u32_u24_e32 v1, 0x506, v0
	v_mov_b32_e32 v4, 0
	v_mov_b32_e32 v5, 0
	s_delay_alu instid0(VALU_DEP_3) | instskip(NEXT) | instid1(VALU_DEP_1)
	v_lshrrev_b32_e32 v2, 16, v1
	v_dual_mov_b32 v1, 0 :: v_dual_add_nc_u32 v6, ttmp9, v2
	s_delay_alu instid0(VALU_DEP_1) | instskip(SKIP_2) | instid1(VALU_DEP_1)
	v_mov_b32_e32 v7, v1
	s_wait_kmcnt 0x0
	v_cmp_lt_u64_e64 s2, s[10:11], 2
	s_and_b32 vcc_lo, exec_lo, s2
	s_cbranch_vccnz .LBB0_8
; %bb.1:
	s_load_b64 s[2:3], s[0:1], 0x10
	v_mov_b32_e32 v4, 0
	v_mov_b32_e32 v5, 0
	s_add_nc_u64 s[16:17], s[14:15], 8
	s_add_nc_u64 s[18:19], s[12:13], 8
	s_mov_b64 s[20:21], 1
	s_delay_alu instid0(VALU_DEP_1)
	v_dual_mov_b32 v137, v5 :: v_dual_mov_b32 v136, v4
	s_wait_kmcnt 0x0
	s_add_nc_u64 s[22:23], s[2:3], 8
	s_mov_b32 s3, 0
.LBB0_2:                                ; =>This Inner Loop Header: Depth=1
	s_load_b64 s[24:25], s[22:23], 0x0
                                        ; implicit-def: $vgpr138_vgpr139
	s_mov_b32 s2, exec_lo
	s_wait_kmcnt 0x0
	v_or_b32_e32 v2, s25, v7
	s_delay_alu instid0(VALU_DEP_1)
	v_cmpx_ne_u64_e32 0, v[1:2]
	s_wait_alu 0xfffe
	s_xor_b32 s26, exec_lo, s2
	s_cbranch_execz .LBB0_4
; %bb.3:                                ;   in Loop: Header=BB0_2 Depth=1
	s_cvt_f32_u32 s2, s24
	s_cvt_f32_u32 s27, s25
	s_sub_nc_u64 s[30:31], 0, s[24:25]
	s_wait_alu 0xfffe
	s_delay_alu instid0(SALU_CYCLE_1) | instskip(SKIP_1) | instid1(SALU_CYCLE_2)
	s_fmamk_f32 s2, s27, 0x4f800000, s2
	s_wait_alu 0xfffe
	v_s_rcp_f32 s2, s2
	s_delay_alu instid0(TRANS32_DEP_1) | instskip(SKIP_1) | instid1(SALU_CYCLE_2)
	s_mul_f32 s2, s2, 0x5f7ffffc
	s_wait_alu 0xfffe
	s_mul_f32 s27, s2, 0x2f800000
	s_wait_alu 0xfffe
	s_delay_alu instid0(SALU_CYCLE_2) | instskip(SKIP_1) | instid1(SALU_CYCLE_2)
	s_trunc_f32 s27, s27
	s_wait_alu 0xfffe
	s_fmamk_f32 s2, s27, 0xcf800000, s2
	s_cvt_u32_f32 s29, s27
	s_wait_alu 0xfffe
	s_delay_alu instid0(SALU_CYCLE_1) | instskip(SKIP_1) | instid1(SALU_CYCLE_2)
	s_cvt_u32_f32 s28, s2
	s_wait_alu 0xfffe
	s_mul_u64 s[34:35], s[30:31], s[28:29]
	s_wait_alu 0xfffe
	s_mul_hi_u32 s37, s28, s35
	s_mul_i32 s36, s28, s35
	s_mul_hi_u32 s2, s28, s34
	s_mul_i32 s33, s29, s34
	s_wait_alu 0xfffe
	s_add_nc_u64 s[36:37], s[2:3], s[36:37]
	s_mul_hi_u32 s27, s29, s34
	s_mul_hi_u32 s38, s29, s35
	s_add_co_u32 s2, s36, s33
	s_wait_alu 0xfffe
	s_add_co_ci_u32 s2, s37, s27
	s_mul_i32 s34, s29, s35
	s_add_co_ci_u32 s35, s38, 0
	s_wait_alu 0xfffe
	s_add_nc_u64 s[34:35], s[2:3], s[34:35]
	s_wait_alu 0xfffe
	v_add_co_u32 v2, s2, s28, s34
	s_delay_alu instid0(VALU_DEP_1) | instskip(SKIP_1) | instid1(VALU_DEP_1)
	s_cmp_lg_u32 s2, 0
	s_add_co_ci_u32 s29, s29, s35
	v_readfirstlane_b32 s28, v2
	s_wait_alu 0xfffe
	s_delay_alu instid0(VALU_DEP_1)
	s_mul_u64 s[30:31], s[30:31], s[28:29]
	s_wait_alu 0xfffe
	s_mul_hi_u32 s35, s28, s31
	s_mul_i32 s34, s28, s31
	s_mul_hi_u32 s2, s28, s30
	s_mul_i32 s33, s29, s30
	s_wait_alu 0xfffe
	s_add_nc_u64 s[34:35], s[2:3], s[34:35]
	s_mul_hi_u32 s27, s29, s30
	s_mul_hi_u32 s28, s29, s31
	s_wait_alu 0xfffe
	s_add_co_u32 s2, s34, s33
	s_add_co_ci_u32 s2, s35, s27
	s_mul_i32 s30, s29, s31
	s_add_co_ci_u32 s31, s28, 0
	s_wait_alu 0xfffe
	s_add_nc_u64 s[30:31], s[2:3], s[30:31]
	s_wait_alu 0xfffe
	v_add_co_u32 v8, s2, v2, s30
	s_delay_alu instid0(VALU_DEP_1) | instskip(SKIP_1) | instid1(VALU_DEP_1)
	s_cmp_lg_u32 s2, 0
	s_add_co_ci_u32 s2, s29, s31
	v_mul_hi_u32 v12, v6, v8
	s_wait_alu 0xfffe
	v_mad_co_u64_u32 v[2:3], null, v6, s2, 0
	v_mad_co_u64_u32 v[8:9], null, v7, v8, 0
	;; [unrolled: 1-line block ×3, first 2 shown]
	s_delay_alu instid0(VALU_DEP_3) | instskip(SKIP_1) | instid1(VALU_DEP_4)
	v_add_co_u32 v2, vcc_lo, v12, v2
	s_wait_alu 0xfffd
	v_add_co_ci_u32_e32 v3, vcc_lo, 0, v3, vcc_lo
	s_delay_alu instid0(VALU_DEP_2) | instskip(SKIP_1) | instid1(VALU_DEP_2)
	v_add_co_u32 v2, vcc_lo, v2, v8
	s_wait_alu 0xfffd
	v_add_co_ci_u32_e32 v2, vcc_lo, v3, v9, vcc_lo
	s_wait_alu 0xfffd
	v_add_co_ci_u32_e32 v3, vcc_lo, 0, v11, vcc_lo
	s_delay_alu instid0(VALU_DEP_2) | instskip(SKIP_1) | instid1(VALU_DEP_2)
	v_add_co_u32 v8, vcc_lo, v2, v10
	s_wait_alu 0xfffd
	v_add_co_ci_u32_e32 v9, vcc_lo, 0, v3, vcc_lo
	s_delay_alu instid0(VALU_DEP_2) | instskip(SKIP_1) | instid1(VALU_DEP_3)
	v_mul_lo_u32 v10, s25, v8
	v_mad_co_u64_u32 v[2:3], null, s24, v8, 0
	v_mul_lo_u32 v11, s24, v9
	s_delay_alu instid0(VALU_DEP_2) | instskip(NEXT) | instid1(VALU_DEP_2)
	v_sub_co_u32 v2, vcc_lo, v6, v2
	v_add3_u32 v3, v3, v11, v10
	s_delay_alu instid0(VALU_DEP_1) | instskip(SKIP_1) | instid1(VALU_DEP_1)
	v_sub_nc_u32_e32 v10, v7, v3
	s_wait_alu 0xfffd
	v_subrev_co_ci_u32_e64 v10, s2, s25, v10, vcc_lo
	v_add_co_u32 v11, s2, v8, 2
	s_wait_alu 0xf1ff
	v_add_co_ci_u32_e64 v12, s2, 0, v9, s2
	v_sub_co_u32 v13, s2, v2, s24
	v_sub_co_ci_u32_e32 v3, vcc_lo, v7, v3, vcc_lo
	s_wait_alu 0xf1ff
	v_subrev_co_ci_u32_e64 v10, s2, 0, v10, s2
	s_delay_alu instid0(VALU_DEP_3) | instskip(NEXT) | instid1(VALU_DEP_3)
	v_cmp_le_u32_e32 vcc_lo, s24, v13
	v_cmp_eq_u32_e64 s2, s25, v3
	s_wait_alu 0xfffd
	v_cndmask_b32_e64 v13, 0, -1, vcc_lo
	v_cmp_le_u32_e32 vcc_lo, s25, v10
	s_wait_alu 0xfffd
	v_cndmask_b32_e64 v14, 0, -1, vcc_lo
	v_cmp_le_u32_e32 vcc_lo, s24, v2
	;; [unrolled: 3-line block ×3, first 2 shown]
	s_wait_alu 0xfffd
	v_cndmask_b32_e64 v15, 0, -1, vcc_lo
	v_cmp_eq_u32_e32 vcc_lo, s25, v10
	s_wait_alu 0xf1ff
	s_delay_alu instid0(VALU_DEP_2)
	v_cndmask_b32_e64 v2, v15, v2, s2
	s_wait_alu 0xfffd
	v_cndmask_b32_e32 v10, v14, v13, vcc_lo
	v_add_co_u32 v13, vcc_lo, v8, 1
	s_wait_alu 0xfffd
	v_add_co_ci_u32_e32 v14, vcc_lo, 0, v9, vcc_lo
	s_delay_alu instid0(VALU_DEP_3) | instskip(SKIP_1) | instid1(VALU_DEP_2)
	v_cmp_ne_u32_e32 vcc_lo, 0, v10
	s_wait_alu 0xfffd
	v_dual_cndmask_b32 v3, v14, v12 :: v_dual_cndmask_b32 v10, v13, v11
	v_cmp_ne_u32_e32 vcc_lo, 0, v2
	s_wait_alu 0xfffd
	s_delay_alu instid0(VALU_DEP_2)
	v_dual_cndmask_b32 v139, v9, v3 :: v_dual_cndmask_b32 v138, v8, v10
.LBB0_4:                                ;   in Loop: Header=BB0_2 Depth=1
	s_wait_alu 0xfffe
	s_and_not1_saveexec_b32 s2, s26
	s_cbranch_execz .LBB0_6
; %bb.5:                                ;   in Loop: Header=BB0_2 Depth=1
	v_cvt_f32_u32_e32 v2, s24
	s_sub_co_i32 s26, 0, s24
	v_mov_b32_e32 v139, v1
	s_delay_alu instid0(VALU_DEP_2) | instskip(NEXT) | instid1(TRANS32_DEP_1)
	v_rcp_iflag_f32_e32 v2, v2
	v_mul_f32_e32 v2, 0x4f7ffffe, v2
	s_delay_alu instid0(VALU_DEP_1) | instskip(SKIP_1) | instid1(VALU_DEP_1)
	v_cvt_u32_f32_e32 v2, v2
	s_wait_alu 0xfffe
	v_mul_lo_u32 v3, s26, v2
	s_delay_alu instid0(VALU_DEP_1) | instskip(NEXT) | instid1(VALU_DEP_1)
	v_mul_hi_u32 v3, v2, v3
	v_add_nc_u32_e32 v2, v2, v3
	s_delay_alu instid0(VALU_DEP_1) | instskip(NEXT) | instid1(VALU_DEP_1)
	v_mul_hi_u32 v2, v6, v2
	v_mul_lo_u32 v3, v2, s24
	v_add_nc_u32_e32 v8, 1, v2
	s_delay_alu instid0(VALU_DEP_2) | instskip(NEXT) | instid1(VALU_DEP_1)
	v_sub_nc_u32_e32 v3, v6, v3
	v_subrev_nc_u32_e32 v9, s24, v3
	v_cmp_le_u32_e32 vcc_lo, s24, v3
	s_wait_alu 0xfffd
	s_delay_alu instid0(VALU_DEP_2) | instskip(NEXT) | instid1(VALU_DEP_1)
	v_dual_cndmask_b32 v3, v3, v9 :: v_dual_cndmask_b32 v2, v2, v8
	v_cmp_le_u32_e32 vcc_lo, s24, v3
	s_delay_alu instid0(VALU_DEP_2) | instskip(SKIP_1) | instid1(VALU_DEP_1)
	v_add_nc_u32_e32 v8, 1, v2
	s_wait_alu 0xfffd
	v_cndmask_b32_e32 v138, v2, v8, vcc_lo
.LBB0_6:                                ;   in Loop: Header=BB0_2 Depth=1
	s_wait_alu 0xfffe
	s_or_b32 exec_lo, exec_lo, s2
	v_mul_lo_u32 v8, v139, s24
	s_delay_alu instid0(VALU_DEP_2)
	v_mul_lo_u32 v9, v138, s25
	s_load_b64 s[26:27], s[18:19], 0x0
	v_mad_co_u64_u32 v[2:3], null, v138, s24, 0
	s_load_b64 s[24:25], s[16:17], 0x0
	s_add_nc_u64 s[20:21], s[20:21], 1
	s_add_nc_u64 s[16:17], s[16:17], 8
	s_wait_alu 0xfffe
	v_cmp_ge_u64_e64 s2, s[20:21], s[10:11]
	s_add_nc_u64 s[18:19], s[18:19], 8
	s_add_nc_u64 s[22:23], s[22:23], 8
	v_add3_u32 v3, v3, v9, v8
	v_sub_co_u32 v2, vcc_lo, v6, v2
	s_wait_alu 0xfffd
	s_delay_alu instid0(VALU_DEP_2) | instskip(SKIP_2) | instid1(VALU_DEP_1)
	v_sub_co_ci_u32_e32 v3, vcc_lo, v7, v3, vcc_lo
	s_and_b32 vcc_lo, exec_lo, s2
	s_wait_kmcnt 0x0
	v_mul_lo_u32 v6, s26, v3
	v_mul_lo_u32 v7, s27, v2
	v_mad_co_u64_u32 v[4:5], null, s26, v2, v[4:5]
	v_mul_lo_u32 v3, s24, v3
	v_mul_lo_u32 v8, s25, v2
	v_mad_co_u64_u32 v[136:137], null, s24, v2, v[136:137]
	s_delay_alu instid0(VALU_DEP_4) | instskip(NEXT) | instid1(VALU_DEP_2)
	v_add3_u32 v5, v7, v5, v6
	v_add3_u32 v137, v8, v137, v3
	s_wait_alu 0xfffe
	s_cbranch_vccnz .LBB0_9
; %bb.7:                                ;   in Loop: Header=BB0_2 Depth=1
	v_dual_mov_b32 v6, v138 :: v_dual_mov_b32 v7, v139
	s_branch .LBB0_2
.LBB0_8:
	v_dual_mov_b32 v137, v5 :: v_dual_mov_b32 v136, v4
	v_dual_mov_b32 v139, v7 :: v_dual_mov_b32 v138, v6
.LBB0_9:
	s_load_b64 s[0:1], s[0:1], 0x28
	v_mul_hi_u32 v1, 0x5050506, v0
	s_lshl_b64 s[10:11], s[10:11], 3
                                        ; implicit-def: $vgpr154
	s_wait_alu 0xfffe
	s_add_nc_u64 s[2:3], s[14:15], s[10:11]
	s_wait_kmcnt 0x0
	v_cmp_gt_u64_e32 vcc_lo, s[0:1], v[138:139]
	v_cmp_le_u64_e64 s0, s[0:1], v[138:139]
	s_delay_alu instid0(VALU_DEP_1)
	s_and_saveexec_b32 s1, s0
	s_wait_alu 0xfffe
	s_xor_b32 s0, exec_lo, s1
; %bb.10:
	v_mul_u32_u24_e32 v1, 51, v1
                                        ; implicit-def: $vgpr4_vgpr5
	s_delay_alu instid0(VALU_DEP_1)
	v_sub_nc_u32_e32 v154, v0, v1
                                        ; implicit-def: $vgpr1
                                        ; implicit-def: $vgpr0
; %bb.11:
	s_wait_alu 0xfffe
	s_or_saveexec_b32 s1, s0
	s_load_b64 s[2:3], s[2:3], 0x0
                                        ; implicit-def: $vgpr2_vgpr3
	s_clause 0xf
	scratch_store_b128 off, v[0:3], off
	; meta instruction
	scratch_store_b128 off, v[0:3], off offset:16
	; meta instruction
	scratch_store_b128 off, v[0:3], off offset:32
	;; [unrolled: 2-line block ×15, first 2 shown]
                                        ; implicit-def: $vgpr18_vgpr19
                                        ; implicit-def: $vgpr46_vgpr47
                                        ; implicit-def: $vgpr50_vgpr51
                                        ; implicit-def: $vgpr54_vgpr55
                                        ; implicit-def: $vgpr58_vgpr59
                                        ; implicit-def: $vgpr62_vgpr63
                                        ; implicit-def: $vgpr66_vgpr67
                                        ; implicit-def: $vgpr106_vgpr107
                                        ; implicit-def: $vgpr26_vgpr27
                                        ; implicit-def: $vgpr10_vgpr11
                                        ; implicit-def: $vgpr110_vgpr111
                                        ; implicit-def: $vgpr114_vgpr115
                                        ; implicit-def: $vgpr118_vgpr119
                                        ; implicit-def: $vgpr134_vgpr135
                                        ; implicit-def: $vgpr130_vgpr131
                                        ; implicit-def: $vgpr126_vgpr127
                                        ; implicit-def: $vgpr122_vgpr123
                                        ; implicit-def: $vgpr94_vgpr95
	s_xor_b32 exec_lo, exec_lo, s1
	s_cbranch_execz .LBB0_15
; %bb.12:
	s_add_nc_u64 s[10:11], s[12:13], s[10:11]
                                        ; implicit-def: $vgpr16_vgpr17
	s_load_b64 s[10:11], s[10:11], 0x0
	s_wait_kmcnt 0x0
	v_mul_lo_u32 v6, s11, v138
	v_mul_lo_u32 v7, s10, v139
	v_mad_co_u64_u32 v[2:3], null, s10, v138, 0
	s_delay_alu instid0(VALU_DEP_1) | instskip(SKIP_1) | instid1(VALU_DEP_2)
	v_add3_u32 v3, v3, v7, v6
	v_mul_u32_u24_e32 v6, 51, v1
	v_lshlrev_b64_e32 v[1:2], 4, v[2:3]
	v_lshlrev_b64_e32 v[3:4], 4, v[4:5]
	s_delay_alu instid0(VALU_DEP_3) | instskip(NEXT) | instid1(VALU_DEP_3)
	v_sub_nc_u32_e32 v154, v0, v6
	v_add_co_u32 v0, s0, s4, v1
	s_wait_alu 0xf1ff
	s_delay_alu instid0(VALU_DEP_4) | instskip(NEXT) | instid1(VALU_DEP_3)
	v_add_co_ci_u32_e64 v1, s0, s5, v2, s0
	v_lshlrev_b32_e32 v2, 4, v154
	s_delay_alu instid0(VALU_DEP_3) | instskip(SKIP_1) | instid1(VALU_DEP_3)
	v_add_co_u32 v0, s0, v0, v3
	s_wait_alu 0xf1ff
	v_add_co_ci_u32_e64 v1, s0, v1, v4, s0
	s_delay_alu instid0(VALU_DEP_2) | instskip(SKIP_1) | instid1(VALU_DEP_2)
	v_add_co_u32 v2, s0, v0, v2
	s_wait_alu 0xf1ff
	v_add_co_ci_u32_e64 v3, s0, 0, v1, s0
	v_cmp_gt_u32_e64 s0, 30, v154
	s_clause 0x10
	global_load_b128 v[92:95], v[2:3], off
	global_load_b128 v[120:123], v[2:3], off offset:1296
	global_load_b128 v[124:127], v[2:3], off offset:2592
	;; [unrolled: 1-line block ×16, first 2 shown]
                                        ; implicit-def: $vgpr0_vgpr1
	s_clause 0xf
	scratch_store_b128 off, v[0:3], off offset:240
	; meta instruction
	scratch_store_b128 off, v[0:3], off offset:224
	; meta instruction
	;; [unrolled: 2-line block ×15, first 2 shown]
	scratch_store_b128 off, v[0:3], off
	s_and_saveexec_b32 s4, s0
	s_cbranch_execz .LBB0_14
; %bb.13:
	s_clause 0x1
	global_load_b128 v[16:19], v[2:3], off offset:816
	global_load_b128 v[4:7], v[2:3], off offset:2112
	s_wait_loadcnt 0x0
	scratch_store_b128 off, v[4:7], off offset:240 ; 16-byte Folded Spill
	global_load_b128 v[4:7], v[2:3], off offset:3408
	s_wait_loadcnt 0x0
	scratch_store_b128 off, v[4:7], off offset:224 ; 16-byte Folded Spill
	;; [unrolled: 3-line block ×14, first 2 shown]
	s_clause 0x1
	global_load_b128 v[4:7], v[2:3], off offset:20256
	global_load_b128 v[0:3], v[2:3], off offset:21552
	s_wait_loadcnt 0x1
	scratch_store_b128 off, v[4:7], off offset:16 ; 16-byte Folded Spill
	s_wait_loadcnt 0x0
	scratch_store_b128 off, v[0:3], off     ; 16-byte Folded Spill
.LBB0_14:
	s_wait_alu 0xfffe
	s_or_b32 exec_lo, exec_lo, s4
.LBB0_15:
	s_delay_alu instid0(SALU_CYCLE_1)
	s_or_b32 exec_lo, exec_lo, s1
	s_wait_loadcnt 0xf
	v_add_f64_e32 v[140:141], v[120:121], v[92:93]
	s_wait_loadcnt 0x0
	v_add_f64_e64 v[142:143], v[122:123], -v[46:47]
	s_mov_b32 s42, 0x5d8e7cdc
	s_mov_b32 s48, 0x2a9d6da3
	;; [unrolled: 1-line block ×13, first 2 shown]
	v_add_f64_e64 v[144:145], v[126:127], -v[50:51]
	v_add_f64_e32 v[146:147], v[44:45], v[120:121]
	s_mov_b32 s41, 0xbfc7851a
	s_mov_b32 s52, 0x7c9e640b
	;; [unrolled: 1-line block ×18, first 2 shown]
	s_wait_alu 0xfffe
	s_mov_b32 s50, s24
	s_mov_b32 s28, s52
	;; [unrolled: 1-line block ×3, first 2 shown]
	v_add_f64_e32 v[140:141], v[124:125], v[140:141]
	v_mul_f64_e32 v[175:176], s[42:43], v[142:143]
	v_mul_f64_e32 v[177:178], s[48:49], v[142:143]
	;; [unrolled: 1-line block ×8, first 2 shown]
	s_mov_b32 s19, 0xbfe348c8
	s_mov_b32 s21, 0xbfeb34fa
	;; [unrolled: 1-line block ×3, first 2 shown]
	v_add_f64_e32 v[148:149], v[48:49], v[124:125]
	v_add_f64_e64 v[150:151], v[130:131], -v[54:55]
	s_mov_b32 s23, 0xbfef7484
	v_mul_f64_e32 v[189:190], s[48:49], v[144:145]
	v_mul_f64_e32 v[191:192], s[44:45], v[144:145]
	;; [unrolled: 1-line block ×6, first 2 shown]
	s_wait_alu 0xfffe
	v_mul_f64_e32 v[201:202], s[28:29], v[144:145]
	v_mul_f64_e32 v[144:145], s[38:39], v[144:145]
	s_mov_b32 s10, 0x2b2883cd
	s_mov_b32 s11, 0x3fdc86fa
	;; [unrolled: 1-line block ×6, first 2 shown]
	v_add_f64_e32 v[152:153], v[52:53], v[128:129]
	v_add_f64_e64 v[155:156], v[134:135], -v[58:59]
	v_add_f64_e64 v[171:172], v[10:11], -v[26:27]
	v_add_f64_e32 v[173:174], v[24:25], v[8:9]
	s_clause 0x1
	scratch_store_b128 off, v[8:11], off offset:272
	scratch_store_b128 off, v[24:27], off offset:256
	s_mov_b32 s47, 0x3fe9895b
	s_mov_b32 s46, s30
	v_add_f64_e32 v[157:158], v[56:57], v[132:133]
	v_add_f64_e32 v[140:141], v[128:129], v[140:141]
	v_fma_f64 v[235:236], v[146:147], s[14:15], v[175:176]
	v_fma_f64 v[237:238], v[146:147], s[12:13], v[177:178]
	v_fma_f64 v[177:178], v[146:147], s[12:13], -v[177:178]
	v_fma_f64 v[239:240], v[146:147], s[4:5], v[179:180]
	v_fma_f64 v[241:242], v[146:147], s[16:17], v[181:182]
	;; [unrolled: 1-line block ×4, first 2 shown]
	v_fma_f64 v[179:180], v[146:147], s[4:5], -v[179:180]
	v_fma_f64 v[183:184], v[146:147], s[18:19], -v[183:184]
	v_fma_f64 v[247:248], v[146:147], s[22:23], v[187:188]
	v_fma_f64 v[187:188], v[146:147], s[22:23], -v[187:188]
	v_fma_f64 v[185:186], v[146:147], s[20:21], -v[185:186]
	;; [unrolled: 1-line block ×3, first 2 shown]
	s_wait_alu 0xfffe
	v_fma_f64 v[249:250], v[146:147], s[10:11], -v[142:143]
	v_fma_f64 v[142:143], v[146:147], s[10:11], v[142:143]
	v_fma_f64 v[146:147], v[146:147], s[14:15], -v[175:176]
	v_mul_f64_e32 v[203:204], s[52:53], v[150:151]
	v_mul_f64_e32 v[205:206], s[30:31], v[150:151]
	;; [unrolled: 1-line block ×8, first 2 shown]
	v_fma_f64 v[4:5], v[148:149], s[12:13], v[189:190]
	v_fma_f64 v[6:7], v[148:149], s[12:13], -v[189:190]
	v_fma_f64 v[189:190], v[148:149], s[4:5], v[191:192]
	v_fma_f64 v[191:192], v[148:149], s[4:5], -v[191:192]
	v_fma_f64 v[10:11], v[148:149], s[18:19], -v[193:194]
	v_fma_f64 v[12:13], v[148:149], s[20:21], v[197:198]
	v_fma_f64 v[14:15], v[148:149], s[20:21], -v[197:198]
	v_fma_f64 v[197:198], v[148:149], s[16:17], v[199:200]
	;; [unrolled: 2-line block ×4, first 2 shown]
	v_fma_f64 v[144:145], v[148:149], s[14:15], -v[144:145]
	v_add_f64_e32 v[140:141], v[132:133], v[140:141]
	v_add_f64_e64 v[159:160], v[118:119], -v[62:63]
	v_mul_f64_e32 v[217:218], s[44:45], v[155:156]
	v_add_f64_e32 v[177:178], v[92:93], v[177:178]
	v_mul_f64_e32 v[219:220], s[40:41], v[155:156]
	v_mul_f64_e32 v[221:222], s[50:51], v[155:156]
	;; [unrolled: 1-line block ×4, first 2 shown]
	v_add_f64_e32 v[179:180], v[92:93], v[179:180]
	v_add_f64_e32 v[183:184], v[92:93], v[183:184]
	v_mul_f64_e32 v[227:228], s[36:37], v[155:156]
	v_add_f64_e32 v[187:188], v[92:93], v[187:188]
	v_add_f64_e32 v[185:186], v[92:93], v[185:186]
	;; [unrolled: 1-line block ×3, first 2 shown]
	v_mul_f64_e32 v[229:230], s[46:47], v[155:156]
	v_add_f64_e32 v[142:143], v[92:93], v[142:143]
	v_mul_f64_e32 v[155:156], s[34:35], v[155:156]
	v_fma_f64 v[28:29], v[152:153], s[10:11], v[203:204]
	v_fma_f64 v[30:31], v[152:153], s[10:11], -v[203:204]
	v_fma_f64 v[203:204], v[152:153], s[18:19], v[205:206]
	v_fma_f64 v[205:206], v[152:153], s[18:19], -v[205:206]
	;; [unrolled: 2-line block ×8, first 2 shown]
	s_mov_b32 s27, 0x3fefdd0d
	s_mov_b32 s26, s44
	v_add_f64_e32 v[161:162], v[60:61], v[116:117]
	v_add_f64_e64 v[163:164], v[114:115], -v[66:67]
	v_add_f64_e32 v[165:166], v[64:65], v[112:113]
	v_add_f64_e32 v[140:141], v[116:117], v[140:141]
	v_mul_f64_e32 v[231:232], s[24:25], v[159:160]
	v_mul_f64_e32 v[233:234], s[54:55], v[159:160]
	v_add_f64_e32 v[152:153], v[191:192], v[177:178]
	v_mul_f64_e32 v[251:252], s[52:53], v[159:160]
	v_mul_f64_e32 v[253:254], s[40:41], v[159:160]
	s_wait_alu 0xfffe
	v_mul_f64_e32 v[0:1], s[26:27], v[159:160]
	v_mul_f64_e32 v[2:3], s[42:43], v[159:160]
	;; [unrolled: 1-line block ×3, first 2 shown]
	v_add_f64_e32 v[183:184], v[199:200], v[183:184]
	v_fma_f64 v[199:200], v[157:158], s[16:17], v[221:222]
	v_add_f64_e32 v[144:145], v[144:145], v[187:188]
	v_add_f64_e32 v[22:23], v[22:23], v[185:186]
	;; [unrolled: 1-line block ×3, first 2 shown]
	v_fma_f64 v[187:188], v[157:158], s[4:5], v[217:218]
	v_add_f64_e64 v[167:168], v[110:111], -v[106:107]
	v_add_f64_e32 v[169:170], v[104:105], v[108:109]
	v_cmp_gt_u32_e64 s0, 30, v154
	v_mul_f64_e32 v[26:27], s[36:37], v[163:164]
	v_mul_f64_e32 v[181:182], s[40:41], v[163:164]
	v_add_f64_e32 v[140:141], v[112:113], v[140:141]
	v_add_f64_e32 v[144:145], v[150:151], v[144:145]
	;; [unrolled: 1-line block ×4, first 2 shown]
	v_fma_f64 v[150:151], v[161:162], s[16:17], v[231:232]
	v_mul_f64_e32 v[185:186], s[36:37], v[167:168]
	v_mul_f64_e32 v[38:39], s[46:47], v[167:168]
	;; [unrolled: 1-line block ×3, first 2 shown]
	v_add_f64_e32 v[140:141], v[108:109], v[140:141]
	s_delay_alu instid0(VALU_DEP_1)
	v_add_f64_e32 v[140:141], v[8:9], v[140:141]
	v_fma_f64 v[8:9], v[148:149], s[18:19], v[193:194]
	v_fma_f64 v[193:194], v[148:149], s[22:23], v[195:196]
	v_fma_f64 v[195:196], v[148:149], s[22:23], -v[195:196]
	v_add_f64_e32 v[148:149], v[92:93], v[235:236]
	v_add_f64_e32 v[235:236], v[92:93], v[237:238]
	;; [unrolled: 1-line block ×9, first 2 shown]
	v_mul_f64_e32 v[146:147], s[30:31], v[159:160]
	v_mul_f64_e32 v[159:160], s[30:31], v[163:164]
	;; [unrolled: 1-line block ×3, first 2 shown]
	v_add_f64_e32 v[140:141], v[24:25], v[140:141]
	v_add_f64_e32 v[8:9], v[8:9], v[142:143]
	v_mul_f64_e32 v[142:143], s[48:49], v[163:164]
	v_add_f64_e32 v[179:180], v[195:196], v[179:180]
	v_add_f64_e32 v[4:5], v[4:5], v[148:149]
	;; [unrolled: 1-line block ×10, first 2 shown]
	v_fma_f64 v[193:194], v[157:158], s[4:5], -v[217:218]
	v_fma_f64 v[195:196], v[157:158], s[22:23], v[219:220]
	v_fma_f64 v[197:198], v[157:158], s[22:23], -v[219:220]
	v_fma_f64 v[201:202], v[157:158], s[16:17], -v[221:222]
	v_fma_f64 v[217:218], v[157:158], s[14:15], v[223:224]
	v_fma_f64 v[221:222], v[157:158], s[10:11], v[225:226]
	v_fma_f64 v[219:220], v[157:158], s[14:15], -v[223:224]
	v_fma_f64 v[223:224], v[157:158], s[10:11], -v[225:226]
	v_fma_f64 v[225:226], v[157:158], s[20:21], v[227:228]
	;; [unrolled: 4-line block ×3, first 2 shown]
	v_fma_f64 v[155:156], v[157:158], s[12:13], -v[155:156]
	v_mul_f64_e32 v[92:93], s[26:27], v[163:164]
	v_mul_f64_e32 v[24:25], s[42:43], v[163:164]
	;; [unrolled: 1-line block ×3, first 2 shown]
	v_add_f64_e32 v[140:141], v[104:105], v[140:141]
	v_add_f64_e32 v[8:9], v[32:33], v[8:9]
	v_mul_f64_e32 v[32:33], s[44:45], v[167:168]
	v_add_f64_e32 v[157:158], v[209:210], v[179:180]
	v_add_f64_e32 v[4:5], v[28:29], v[4:5]
	;; [unrolled: 1-line block ×12, first 2 shown]
	v_fma_f64 v[183:184], v[161:162], s[20:21], v[233:234]
	v_fma_f64 v[189:190], v[161:162], s[20:21], -v[233:234]
	v_fma_f64 v[203:204], v[161:162], s[10:11], v[251:252]
	v_fma_f64 v[207:208], v[161:162], s[22:23], v[253:254]
	;; [unrolled: 1-line block ×4, first 2 shown]
	v_fma_f64 v[179:180], v[161:162], s[16:17], -v[231:232]
	v_fma_f64 v[191:192], v[161:162], s[12:13], v[175:176]
	v_fma_f64 v[175:176], v[161:162], s[12:13], -v[175:176]
	v_fma_f64 v[205:206], v[161:162], s[10:11], -v[251:252]
	;; [unrolled: 1-line block ×5, first 2 shown]
	v_fma_f64 v[215:216], v[161:162], s[18:19], v[146:147]
	v_fma_f64 v[146:147], v[161:162], s[18:19], -v[146:147]
	v_add_f64_e32 v[144:145], v[155:156], v[144:145]
	v_add_f64_e32 v[22:23], v[229:230], v[22:23]
	;; [unrolled: 1-line block ×3, first 2 shown]
	v_mul_f64_e32 v[30:31], s[28:29], v[167:168]
	v_mul_f64_e32 v[155:156], s[34:35], v[167:168]
	v_fma_f64 v[223:224], v[165:166], s[22:23], v[181:182]
	v_fma_f64 v[181:182], v[165:166], s[22:23], -v[181:182]
	v_add_f64_e32 v[34:35], v[64:65], v[140:141]
	v_add_f64_e32 v[8:9], v[199:200], v[8:9]
	v_fma_f64 v[199:200], v[165:166], s[16:17], -v[249:250]
	v_add_f64_e32 v[157:158], v[219:220], v[157:158]
	v_add_f64_e32 v[4:5], v[187:188], v[4:5]
	;; [unrolled: 1-line block ×12, first 2 shown]
	v_fma_f64 v[195:196], v[165:166], s[18:19], v[159:160]
	v_fma_f64 v[197:198], v[165:166], s[16:17], v[249:250]
	;; [unrolled: 1-line block ×4, first 2 shown]
	v_mul_f64_e32 v[140:141], s[40:41], v[167:168]
	v_fma_f64 v[221:222], v[165:166], s[12:13], v[142:143]
	v_mul_f64_e32 v[167:168], s[24:25], v[167:168]
	v_fma_f64 v[26:27], v[165:166], s[20:21], -v[26:27]
	v_fma_f64 v[142:143], v[165:166], s[12:13], -v[142:143]
	v_fma_f64 v[225:226], v[165:166], s[10:11], v[163:164]
	v_fma_f64 v[163:164], v[165:166], s[10:11], -v[163:164]
	v_fma_f64 v[92:93], v[165:166], s[4:5], -v[92:93]
	v_fma_f64 v[201:202], v[165:166], s[14:15], v[24:25]
	v_fma_f64 v[24:25], v[165:166], s[14:15], -v[24:25]
	v_fma_f64 v[159:160], v[165:166], s[18:19], -v[159:160]
	v_add_f64_e32 v[144:145], v[146:147], v[144:145]
	v_add_f64_e32 v[2:3], v[2:3], v[22:23]
	;; [unrolled: 1-line block ×3, first 2 shown]
	v_mul_f64_e32 v[177:178], s[40:41], v[171:172]
	v_mul_f64_e32 v[187:188], s[38:39], v[171:172]
	;; [unrolled: 1-line block ×5, first 2 shown]
	v_add_f64_e32 v[34:35], v[60:61], v[34:35]
	v_add_f64_e32 v[8:9], v[191:192], v[8:9]
	;; [unrolled: 1-line block ×14, first 2 shown]
	v_mul_f64_e32 v[157:158], s[28:29], v[171:172]
	v_mul_f64_e32 v[161:162], s[24:25], v[171:172]
	v_fma_f64 v[175:176], v[169:170], s[20:21], -v[185:186]
	v_fma_f64 v[179:180], v[169:170], s[10:11], v[30:31]
	v_fma_f64 v[30:31], v[169:170], s[10:11], -v[30:31]
	v_fma_f64 v[189:190], v[169:170], s[14:15], v[42:43]
	v_fma_f64 v[191:192], v[169:170], s[22:23], v[140:141]
	;; [unrolled: 1-line block ×4, first 2 shown]
	v_fma_f64 v[167:168], v[169:170], s[16:17], -v[167:168]
	v_fma_f64 v[140:141], v[169:170], s[22:23], -v[140:141]
	;; [unrolled: 1-line block ×4, first 2 shown]
	v_fma_f64 v[183:184], v[169:170], s[4:5], v[32:33]
	v_fma_f64 v[32:33], v[169:170], s[4:5], -v[32:33]
	v_add_f64_e32 v[2:3], v[181:182], v[2:3]
	v_add_f64_e32 v[14:15], v[92:93], v[14:15]
	v_fma_f64 v[92:93], v[173:174], s[22:23], -v[177:178]
	v_add_f64_e32 v[22:23], v[56:57], v[34:35]
	v_mul_f64_e32 v[34:35], s[34:35], v[171:172]
	v_fma_f64 v[171:172], v[169:170], s[20:21], v[185:186]
	v_fma_f64 v[185:186], v[169:170], s[18:19], v[38:39]
	v_add_f64_e32 v[4:5], v[195:196], v[4:5]
	v_add_f64_e32 v[28:29], v[197:198], v[28:29]
	;; [unrolled: 1-line block ×7, first 2 shown]
	v_fma_f64 v[38:39], v[169:170], s[18:19], -v[38:39]
	v_add_f64_e32 v[26:27], v[26:27], v[152:153]
	v_add_f64_e32 v[0:1], v[142:143], v[0:1]
	;; [unrolled: 1-line block ×7, first 2 shown]
	v_fma_f64 v[24:25], v[173:174], s[22:23], v[177:178]
	v_fma_f64 v[144:145], v[173:174], s[14:15], v[187:188]
	v_fma_f64 v[152:153], v[173:174], s[14:15], -v[187:188]
	v_fma_f64 v[177:178], v[173:174], s[18:19], v[146:147]
	v_fma_f64 v[181:182], v[173:174], s[10:11], v[157:158]
	v_fma_f64 v[187:188], v[173:174], s[16:17], v[161:162]
	v_fma_f64 v[159:160], v[173:174], s[20:21], v[193:194]
	v_fma_f64 v[163:164], v[173:174], s[20:21], -v[193:194]
	v_fma_f64 v[193:194], v[173:174], s[4:5], v[165:166]
	v_fma_f64 v[165:166], v[173:174], s[4:5], -v[165:166]
	v_fma_f64 v[157:158], v[173:174], s[10:11], -v[157:158]
	;; [unrolled: 1-line block ×3, first 2 shown]
	v_add_f64_e32 v[2:3], v[155:156], v[2:3]
	v_fma_f64 v[146:147], v[173:174], s[18:19], -v[146:147]
	v_add_f64_e32 v[14:15], v[42:43], v[14:15]
	v_mad_u32_u24 v155, 0x88, v154, 0
	v_add_f64_e32 v[22:23], v[52:53], v[22:23]
	v_fma_f64 v[169:170], v[173:174], s[12:13], v[34:35]
	v_fma_f64 v[34:35], v[173:174], s[12:13], -v[34:35]
	v_add_f64_e32 v[4:5], v[171:172], v[4:5]
	v_add_f64_e32 v[28:29], v[179:180], v[28:29]
	;; [unrolled: 1-line block ×32, first 2 shown]
	ds_store_2addr_b64 v155, v[30:31], v[12:13] offset0:4 offset1:5
	ds_store_2addr_b64 v155, v[32:33], v[20:21] offset0:6 offset1:7
	;; [unrolled: 1-line block ×6, first 2 shown]
	ds_store_2addr_b64 v155, v[22:23], v[4:5] offset1:1
	ds_store_2addr_b64 v155, v[24:25], v[8:9] offset0:2 offset1:3
	ds_store_b64 v155, v[6:7] offset:128
	s_and_saveexec_b32 s1, s0
	s_cbranch_execz .LBB0_17
; %bb.16:
	s_clause 0x1
	scratch_load_b128 v[240:243], off, off
	scratch_load_b128 v[148:151], off, off offset:240
	v_dual_mov_b32 v103, v67 :: v_dual_mov_b32 v102, v66
	v_dual_mov_b32 v101, v65 :: v_dual_mov_b32 v100, v64
	;; [unrolled: 1-line block ×12, first 2 shown]
	s_wait_loadcnt 0x0
	v_add_f64_e64 v[92:93], v[150:151], -v[242:243]
	s_clause 0x1
	scratch_load_b128 v[242:245], off, off offset:16
	scratch_load_b128 v[72:75], off, off offset:224
	v_add_f64_e32 v[140:141], v[240:241], v[148:149]
	s_delay_alu instid0(VALU_DEP_1) | instskip(SKIP_1) | instid1(VALU_DEP_2)
	v_mul_f64_e32 v[146:147], s[10:11], v[140:141]
	v_mul_f64_e32 v[150:151], s[12:13], v[140:141]
	v_fma_f64 v[0:1], v[92:93], s[52:53], v[146:147]
	s_delay_alu instid0(VALU_DEP_1)
	v_add_f64_e32 v[0:1], v[16:17], v[0:1]
	s_wait_loadcnt 0x0
	v_add_f64_e32 v[144:145], v[242:243], v[72:73]
	v_add_f64_e64 v[142:143], v[74:75], -v[244:245]
	s_clause 0x7
	scratch_load_b128 v[244:247], off, off offset:32
	scratch_load_b128 v[68:71], off, off offset:208
	;; [unrolled: 1-line block ×8, first 2 shown]
	v_mul_f64_e32 v[74:75], s[18:19], v[144:145]
	v_mul_f64_e32 v[152:153], s[4:5], v[144:145]
	;; [unrolled: 1-line block ×6, first 2 shown]
	v_fma_f64 v[2:3], v[142:143], s[30:31], v[74:75]
	v_fma_f64 v[4:5], v[142:143], s[44:45], v[152:153]
	;; [unrolled: 1-line block ×7, first 2 shown]
	v_add_f64_e32 v[0:1], v[2:3], v[0:1]
	v_fma_f64 v[2:3], v[92:93], s[48:49], v[150:151]
	s_delay_alu instid0(VALU_DEP_1) | instskip(NEXT) | instid1(VALU_DEP_1)
	v_add_f64_e32 v[2:3], v[16:17], v[2:3]
	v_add_f64_e32 v[2:3], v[4:5], v[2:3]
	v_mul_f64_e32 v[4:5], s[16:17], v[140:141]
	s_delay_alu instid0(VALU_DEP_1) | instskip(SKIP_1) | instid1(VALU_DEP_2)
	v_fma_f64 v[6:7], v[92:93], s[24:25], v[4:5]
	v_fma_f64 v[4:5], v[92:93], s[50:51], v[4:5]
	v_add_f64_e32 v[6:7], v[16:17], v[6:7]
	s_delay_alu instid0(VALU_DEP_2) | instskip(NEXT) | instid1(VALU_DEP_2)
	v_add_f64_e32 v[4:5], v[16:17], v[4:5]
	v_add_f64_e32 v[6:7], v[10:11], v[6:7]
	v_mul_f64_e32 v[10:11], s[4:5], v[140:141]
	s_wait_loadcnt 0x6
	v_add_f64_e64 v[22:23], v[70:71], -v[246:247]
	scratch_load_b128 v[246:249], off, off offset:48 ; 16-byte Folded Reload
	s_wait_loadcnt 0x2
	v_add_f64_e64 v[194:195], v[50:51], -v[46:47]
	v_fma_f64 v[12:13], v[92:93], s[44:45], v[10:11]
	s_delay_alu instid0(VALU_DEP_1) | instskip(NEXT) | instid1(VALU_DEP_1)
	v_add_f64_e32 v[12:13], v[16:17], v[12:13]
	v_add_f64_e32 v[12:13], v[20:21], v[12:13]
	;; [unrolled: 1-line block ×3, first 2 shown]
	s_delay_alu instid0(VALU_DEP_1) | instskip(NEXT) | instid1(VALU_DEP_1)
	v_mul_f64_e32 v[24:25], s[22:23], v[20:21]
	v_fma_f64 v[26:27], v[22:23], s[56:57], v[24:25]
	s_delay_alu instid0(VALU_DEP_1) | instskip(SKIP_1) | instid1(VALU_DEP_1)
	v_add_f64_e32 v[0:1], v[26:27], v[0:1]
	v_mul_f64_e32 v[26:27], s[18:19], v[20:21]
	v_fma_f64 v[28:29], v[22:23], s[30:31], v[26:27]
	s_delay_alu instid0(VALU_DEP_1)
	v_add_f64_e32 v[2:3], v[28:29], v[2:3]
	v_mul_f64_e32 v[28:29], s[12:13], v[20:21]
	s_wait_loadcnt 0x0
	v_add_f64_e64 v[34:35], v[66:67], -v[248:249]
	scratch_load_b128 v[248:251], off, off offset:64 ; 16-byte Folded Reload
	v_fma_f64 v[30:31], v[22:23], s[34:35], v[28:29]
	s_delay_alu instid0(VALU_DEP_1) | instskip(SKIP_1) | instid1(VALU_DEP_1)
	v_add_f64_e32 v[6:7], v[30:31], v[6:7]
	v_mul_f64_e32 v[30:31], s[16:17], v[20:21]
	v_fma_f64 v[32:33], v[22:23], s[50:51], v[30:31]
	s_delay_alu instid0(VALU_DEP_1) | instskip(SKIP_1) | instid1(VALU_DEP_1)
	v_add_f64_e32 v[12:13], v[32:33], v[12:13]
	v_add_f64_e32 v[32:33], v[246:247], v[64:65]
	v_mul_f64_e32 v[36:37], s[16:17], v[32:33]
	s_delay_alu instid0(VALU_DEP_1) | instskip(NEXT) | instid1(VALU_DEP_1)
	v_fma_f64 v[38:39], v[34:35], s[50:51], v[36:37]
	v_add_f64_e32 v[0:1], v[38:39], v[0:1]
	v_mul_f64_e32 v[38:39], s[22:23], v[32:33]
	s_delay_alu instid0(VALU_DEP_1) | instskip(NEXT) | instid1(VALU_DEP_1)
	v_fma_f64 v[40:41], v[34:35], s[40:41], v[38:39]
	v_add_f64_e32 v[2:3], v[40:41], v[2:3]
	v_mul_f64_e32 v[40:41], s[10:11], v[32:33]
	s_wait_loadcnt 0x0
	v_add_f64_e64 v[158:159], v[62:63], -v[250:251]
	scratch_load_b128 v[250:253], off, off offset:80 ; 16-byte Folded Reload
	v_fma_f64 v[42:43], v[34:35], s[52:53], v[40:41]
	s_delay_alu instid0(VALU_DEP_1) | instskip(SKIP_1) | instid1(VALU_DEP_1)
	v_add_f64_e32 v[6:7], v[42:43], v[6:7]
	v_mul_f64_e32 v[42:43], s[14:15], v[32:33]
	v_fma_f64 v[156:157], v[34:35], s[38:39], v[42:43]
	s_delay_alu instid0(VALU_DEP_1) | instskip(SKIP_1) | instid1(VALU_DEP_1)
	v_add_f64_e32 v[12:13], v[156:157], v[12:13]
	v_add_f64_e32 v[156:157], v[248:249], v[60:61]
	v_mul_f64_e32 v[160:161], s[12:13], v[156:157]
	s_delay_alu instid0(VALU_DEP_1) | instskip(NEXT) | instid1(VALU_DEP_1)
	v_fma_f64 v[162:163], v[158:159], s[34:35], v[160:161]
	v_add_f64_e32 v[0:1], v[162:163], v[0:1]
	v_mul_f64_e32 v[162:163], s[20:21], v[156:157]
	s_delay_alu instid0(VALU_DEP_1)
	v_fma_f64 v[164:165], v[158:159], s[54:55], v[162:163]
	s_wait_loadcnt 0x0
	v_add_f64_e64 v[170:171], v[58:59], -v[252:253]
	scratch_load_b128 v[252:255], off, off offset:96 ; 16-byte Folded Reload
	v_add_f64_e32 v[2:3], v[164:165], v[2:3]
	v_mul_f64_e32 v[164:165], s[22:23], v[156:157]
	s_delay_alu instid0(VALU_DEP_1) | instskip(NEXT) | instid1(VALU_DEP_1)
	v_fma_f64 v[166:167], v[158:159], s[40:41], v[164:165]
	v_add_f64_e32 v[6:7], v[166:167], v[6:7]
	v_mul_f64_e32 v[166:167], s[10:11], v[156:157]
	s_delay_alu instid0(VALU_DEP_1) | instskip(NEXT) | instid1(VALU_DEP_1)
	v_fma_f64 v[168:169], v[158:159], s[52:53], v[166:167]
	v_add_f64_e32 v[12:13], v[168:169], v[12:13]
	v_add_f64_e32 v[168:169], v[250:251], v[56:57]
	s_delay_alu instid0(VALU_DEP_1) | instskip(NEXT) | instid1(VALU_DEP_1)
	v_mul_f64_e32 v[172:173], s[14:15], v[168:169]
	v_fma_f64 v[174:175], v[170:171], s[42:43], v[172:173]
	s_delay_alu instid0(VALU_DEP_1) | instskip(SKIP_3) | instid1(VALU_DEP_2)
	v_add_f64_e32 v[0:1], v[174:175], v[0:1]
	v_mul_f64_e32 v[174:175], s[16:17], v[168:169]
	s_wait_loadcnt 0x0
	v_add_f64_e64 v[182:183], v[54:55], -v[254:255]
	v_fma_f64 v[176:177], v[170:171], s[50:51], v[174:175]
	s_delay_alu instid0(VALU_DEP_1) | instskip(SKIP_1) | instid1(VALU_DEP_1)
	v_add_f64_e32 v[2:3], v[176:177], v[2:3]
	v_mul_f64_e32 v[176:177], s[4:5], v[168:169]
	v_fma_f64 v[178:179], v[170:171], s[26:27], v[176:177]
	s_delay_alu instid0(VALU_DEP_1) | instskip(SKIP_1) | instid1(VALU_DEP_1)
	v_add_f64_e32 v[6:7], v[178:179], v[6:7]
	v_mul_f64_e32 v[178:179], s[20:21], v[168:169]
	v_fma_f64 v[180:181], v[170:171], s[36:37], v[178:179]
	s_delay_alu instid0(VALU_DEP_1) | instskip(SKIP_1) | instid1(VALU_DEP_1)
	v_add_f64_e32 v[12:13], v[180:181], v[12:13]
	v_add_f64_e32 v[180:181], v[252:253], v[52:53]
	v_mul_f64_e32 v[184:185], s[4:5], v[180:181]
	s_delay_alu instid0(VALU_DEP_1) | instskip(NEXT) | instid1(VALU_DEP_1)
	v_fma_f64 v[186:187], v[182:183], s[44:45], v[184:185]
	v_add_f64_e32 v[0:1], v[186:187], v[0:1]
	v_mul_f64_e32 v[186:187], s[10:11], v[180:181]
	s_delay_alu instid0(VALU_DEP_1) | instskip(NEXT) | instid1(VALU_DEP_1)
	v_fma_f64 v[188:189], v[182:183], s[28:29], v[186:187]
	;; [unrolled: 4-line block ×4, first 2 shown]
	v_add_f64_e32 v[12:13], v[192:193], v[12:13]
	v_add_f64_e32 v[192:193], v[44:45], v[48:49]
	s_delay_alu instid0(VALU_DEP_1) | instskip(NEXT) | instid1(VALU_DEP_1)
	v_mul_f64_e32 v[196:197], s[20:21], v[192:193]
	v_fma_f64 v[198:199], v[194:195], s[36:37], v[196:197]
	s_delay_alu instid0(VALU_DEP_1) | instskip(SKIP_1) | instid1(VALU_DEP_1)
	v_add_f64_e32 v[0:1], v[198:199], v[0:1]
	v_mul_f64_e32 v[198:199], s[14:15], v[192:193]
	v_fma_f64 v[200:201], v[194:195], s[38:39], v[198:199]
	s_delay_alu instid0(VALU_DEP_1) | instskip(SKIP_1) | instid1(VALU_DEP_1)
	v_add_f64_e32 v[2:3], v[200:201], v[2:3]
	;; [unrolled: 4-line block ×3, first 2 shown]
	v_mul_f64_e32 v[202:203], s[12:13], v[192:193]
	v_fma_f64 v[204:205], v[194:195], s[34:35], v[202:203]
	s_delay_alu instid0(VALU_DEP_1)
	v_add_f64_e32 v[12:13], v[204:205], v[12:13]
	v_add_nc_u32_e32 v204, 0x1b28, v155
	v_add_nc_u32_e32 v205, 0x1b38, v155
	ds_store_2addr_b64 v204, v[2:3], v[0:1] offset1:1
	ds_store_2addr_b64 v205, v[12:13], v[6:7] offset1:1
	v_mul_f64_e32 v[0:1], s[20:21], v[140:141]
	v_mul_f64_e32 v[6:7], s[10:11], v[144:145]
	s_delay_alu instid0(VALU_DEP_2) | instskip(NEXT) | instid1(VALU_DEP_2)
	v_fma_f64 v[2:3], v[92:93], s[36:37], v[0:1]
	v_fma_f64 v[12:13], v[142:143], s[28:29], v[6:7]
	;; [unrolled: 1-line block ×3, first 2 shown]
	s_delay_alu instid0(VALU_DEP_3) | instskip(NEXT) | instid1(VALU_DEP_2)
	v_add_f64_e32 v[2:3], v[16:17], v[2:3]
	v_add_f64_e32 v[0:1], v[16:17], v[0:1]
	s_delay_alu instid0(VALU_DEP_2) | instskip(SKIP_1) | instid1(VALU_DEP_1)
	v_add_f64_e32 v[2:3], v[12:13], v[2:3]
	v_mul_f64_e32 v[12:13], s[18:19], v[140:141]
	v_fma_f64 v[204:205], v[92:93], s[30:31], v[12:13]
	s_delay_alu instid0(VALU_DEP_1) | instskip(NEXT) | instid1(VALU_DEP_1)
	v_add_f64_e32 v[204:205], v[16:17], v[204:205]
	v_add_f64_e32 v[204:205], v[208:209], v[204:205]
	v_mul_f64_e32 v[208:209], s[22:23], v[140:141]
	s_delay_alu instid0(VALU_DEP_1) | instskip(SKIP_1) | instid1(VALU_DEP_2)
	v_fma_f64 v[210:211], v[92:93], s[56:57], v[208:209]
	v_fma_f64 v[208:209], v[92:93], s[40:41], v[208:209]
	v_add_f64_e32 v[210:211], v[16:17], v[210:211]
	s_delay_alu instid0(VALU_DEP_2) | instskip(NEXT) | instid1(VALU_DEP_2)
	v_add_f64_e32 v[208:209], v[16:17], v[208:209]
	v_add_f64_e32 v[210:211], v[214:215], v[210:211]
	s_delay_alu instid0(VALU_DEP_2) | instskip(SKIP_1) | instid1(VALU_DEP_1)
	v_add_f64_e32 v[208:209], v[212:213], v[208:209]
	v_mul_f64_e32 v[212:213], s[4:5], v[20:21]
	v_fma_f64 v[214:215], v[22:23], s[44:45], v[212:213]
	s_delay_alu instid0(VALU_DEP_1) | instskip(SKIP_1) | instid1(VALU_DEP_1)
	v_add_f64_e32 v[2:3], v[214:215], v[2:3]
	v_mul_f64_e32 v[214:215], s[14:15], v[20:21]
	v_fma_f64 v[216:217], v[22:23], s[42:43], v[214:215]
	s_delay_alu instid0(VALU_DEP_1) | instskip(SKIP_1) | instid1(VALU_DEP_1)
	v_add_f64_e32 v[204:205], v[216:217], v[204:205]
	v_mul_f64_e32 v[216:217], s[20:21], v[20:21]
	v_fma_f64 v[218:219], v[22:23], s[54:55], v[216:217]
	v_fma_f64 v[216:217], v[22:23], s[36:37], v[216:217]
	s_delay_alu instid0(VALU_DEP_2) | instskip(NEXT) | instid1(VALU_DEP_2)
	v_add_f64_e32 v[210:211], v[218:219], v[210:211]
	v_add_f64_e32 v[208:209], v[216:217], v[208:209]
	v_mul_f64_e32 v[216:217], s[18:19], v[32:33]
	s_delay_alu instid0(VALU_DEP_1) | instskip(NEXT) | instid1(VALU_DEP_1)
	v_fma_f64 v[218:219], v[34:35], s[46:47], v[216:217]
	v_add_f64_e32 v[2:3], v[218:219], v[2:3]
	v_mul_f64_e32 v[218:219], s[20:21], v[32:33]
	s_delay_alu instid0(VALU_DEP_1) | instskip(NEXT) | instid1(VALU_DEP_1)
	v_fma_f64 v[220:221], v[34:35], s[36:37], v[218:219]
	v_add_f64_e32 v[204:205], v[220:221], v[204:205]
	v_mul_f64_e32 v[220:221], s[12:13], v[32:33]
	s_delay_alu instid0(VALU_DEP_1) | instskip(SKIP_1) | instid1(VALU_DEP_2)
	v_fma_f64 v[222:223], v[34:35], s[48:49], v[220:221]
	v_fma_f64 v[220:221], v[34:35], s[34:35], v[220:221]
	v_add_f64_e32 v[210:211], v[222:223], v[210:211]
	s_delay_alu instid0(VALU_DEP_2) | instskip(SKIP_1) | instid1(VALU_DEP_1)
	v_add_f64_e32 v[208:209], v[220:221], v[208:209]
	v_mul_f64_e32 v[220:221], s[14:15], v[156:157]
	v_fma_f64 v[222:223], v[158:159], s[42:43], v[220:221]
	s_delay_alu instid0(VALU_DEP_1) | instskip(SKIP_1) | instid1(VALU_DEP_1)
	v_add_f64_e32 v[2:3], v[222:223], v[2:3]
	v_mul_f64_e32 v[222:223], s[4:5], v[156:157]
	v_fma_f64 v[224:225], v[158:159], s[26:27], v[222:223]
	s_delay_alu instid0(VALU_DEP_1) | instskip(SKIP_1) | instid1(VALU_DEP_1)
	v_add_f64_e32 v[204:205], v[224:225], v[204:205]
	v_mul_f64_e32 v[224:225], s[18:19], v[156:157]
	v_fma_f64 v[226:227], v[158:159], s[46:47], v[224:225]
	v_fma_f64 v[224:225], v[158:159], s[30:31], v[224:225]
	s_delay_alu instid0(VALU_DEP_2) | instskip(NEXT) | instid1(VALU_DEP_2)
	v_add_f64_e32 v[210:211], v[226:227], v[210:211]
	v_add_f64_e32 v[208:209], v[224:225], v[208:209]
	v_mul_f64_e32 v[224:225], s[22:23], v[168:169]
	s_delay_alu instid0(VALU_DEP_1) | instskip(NEXT) | instid1(VALU_DEP_1)
	v_fma_f64 v[226:227], v[170:171], s[40:41], v[224:225]
	v_add_f64_e32 v[2:3], v[226:227], v[2:3]
	v_mul_f64_e32 v[226:227], s[12:13], v[168:169]
	s_delay_alu instid0(VALU_DEP_1) | instskip(NEXT) | instid1(VALU_DEP_1)
	v_fma_f64 v[228:229], v[170:171], s[48:49], v[226:227]
	v_add_f64_e32 v[204:205], v[228:229], v[204:205]
	v_mul_f64_e32 v[228:229], s[10:11], v[168:169]
	s_delay_alu instid0(VALU_DEP_1) | instskip(SKIP_1) | instid1(VALU_DEP_2)
	v_fma_f64 v[230:231], v[170:171], s[52:53], v[228:229]
	v_fma_f64 v[228:229], v[170:171], s[28:29], v[228:229]
	v_add_f64_e32 v[210:211], v[230:231], v[210:211]
	s_delay_alu instid0(VALU_DEP_2) | instskip(SKIP_1) | instid1(VALU_DEP_1)
	v_add_f64_e32 v[208:209], v[228:229], v[208:209]
	v_mul_f64_e32 v[228:229], s[12:13], v[180:181]
	v_fma_f64 v[230:231], v[182:183], s[34:35], v[228:229]
	s_delay_alu instid0(VALU_DEP_1) | instskip(SKIP_1) | instid1(VALU_DEP_1)
	v_add_f64_e32 v[2:3], v[230:231], v[2:3]
	v_mul_f64_e32 v[230:231], s[22:23], v[180:181]
	v_fma_f64 v[232:233], v[182:183], s[40:41], v[230:231]
	s_delay_alu instid0(VALU_DEP_1) | instskip(SKIP_1) | instid1(VALU_DEP_1)
	v_add_f64_e32 v[204:205], v[232:233], v[204:205]
	v_mul_f64_e32 v[232:233], s[16:17], v[180:181]
	v_fma_f64 v[234:235], v[182:183], s[50:51], v[232:233]
	v_fma_f64 v[232:233], v[182:183], s[24:25], v[232:233]
	s_delay_alu instid0(VALU_DEP_2) | instskip(NEXT) | instid1(VALU_DEP_2)
	v_add_f64_e32 v[210:211], v[234:235], v[210:211]
	v_add_f64_e32 v[208:209], v[232:233], v[208:209]
	v_mul_f64_e32 v[232:233], s[16:17], v[192:193]
	s_delay_alu instid0(VALU_DEP_1) | instskip(NEXT) | instid1(VALU_DEP_1)
	v_fma_f64 v[234:235], v[194:195], s[24:25], v[232:233]
	v_add_f64_e32 v[2:3], v[234:235], v[2:3]
	v_mul_f64_e32 v[234:235], s[10:11], v[192:193]
	s_delay_alu instid0(VALU_DEP_1) | instskip(NEXT) | instid1(VALU_DEP_1)
	v_fma_f64 v[236:237], v[194:195], s[28:29], v[234:235]
	v_add_f64_e32 v[204:205], v[236:237], v[204:205]
	v_mul_f64_e32 v[236:237], s[4:5], v[192:193]
	s_delay_alu instid0(VALU_DEP_1) | instskip(SKIP_1) | instid1(VALU_DEP_2)
	v_fma_f64 v[238:239], v[194:195], s[44:45], v[236:237]
	v_fma_f64 v[236:237], v[194:195], s[26:27], v[236:237]
	v_add_f64_e32 v[210:211], v[238:239], v[210:211]
	s_delay_alu instid0(VALU_DEP_2)
	v_add_f64_e32 v[208:209], v[236:237], v[208:209]
	v_add_nc_u32_e32 v236, 0x1b48, v155
	v_add_nc_u32_e32 v237, 0x1b58, v155
	ds_store_2addr_b64 v236, v[204:205], v[2:3] offset1:1
	ds_store_2addr_b64 v237, v[208:209], v[210:211] offset1:1
	v_fma_f64 v[2:3], v[142:143], s[52:53], v[6:7]
	v_fma_f64 v[6:7], v[142:143], s[24:25], v[206:207]
	s_delay_alu instid0(VALU_DEP_2) | instskip(SKIP_1) | instid1(VALU_DEP_1)
	v_add_f64_e32 v[0:1], v[2:3], v[0:1]
	v_fma_f64 v[2:3], v[92:93], s[46:47], v[12:13]
	v_add_f64_e32 v[2:3], v[16:17], v[2:3]
	s_delay_alu instid0(VALU_DEP_1) | instskip(SKIP_2) | instid1(VALU_DEP_2)
	v_add_f64_e32 v[2:3], v[6:7], v[2:3]
	v_fma_f64 v[6:7], v[142:143], s[36:37], v[8:9]
	v_fma_f64 v[8:9], v[142:143], s[56:57], v[14:15]
	v_add_f64_e32 v[4:5], v[6:7], v[4:5]
	v_fma_f64 v[6:7], v[92:93], s[26:27], v[10:11]
	s_delay_alu instid0(VALU_DEP_1) | instskip(NEXT) | instid1(VALU_DEP_1)
	v_add_f64_e32 v[6:7], v[16:17], v[6:7]
	v_add_f64_e32 v[6:7], v[8:9], v[6:7]
	v_fma_f64 v[8:9], v[22:23], s[26:27], v[212:213]
	s_delay_alu instid0(VALU_DEP_1) | instskip(SKIP_1) | instid1(VALU_DEP_1)
	v_add_f64_e32 v[0:1], v[8:9], v[0:1]
	v_fma_f64 v[8:9], v[22:23], s[38:39], v[214:215]
	v_add_f64_e32 v[2:3], v[8:9], v[2:3]
	v_fma_f64 v[8:9], v[22:23], s[48:49], v[28:29]
	s_delay_alu instid0(VALU_DEP_1) | instskip(SKIP_1) | instid1(VALU_DEP_1)
	v_add_f64_e32 v[4:5], v[8:9], v[4:5]
	v_fma_f64 v[8:9], v[22:23], s[24:25], v[30:31]
	;; [unrolled: 5-line block ×12, first 2 shown]
	v_add_f64_e32 v[6:7], v[8:9], v[6:7]
	v_add_nc_u32_e32 v8, 0x1b68, v155
	v_add_nc_u32_e32 v9, 0x1b78, v155
	ds_store_2addr_b64 v8, v[0:1], v[2:3] offset1:1
	ds_store_2addr_b64 v9, v[4:5], v[6:7] offset1:1
	v_fma_f64 v[0:1], v[92:93], s[28:29], v[146:147]
	v_fma_f64 v[2:3], v[142:143], s[46:47], v[74:75]
	v_fma_f64 v[4:5], v[142:143], s[26:27], v[152:153]
	v_mul_f64_e32 v[8:9], s[10:11], v[20:21]
	s_delay_alu instid0(VALU_DEP_4) | instskip(NEXT) | instid1(VALU_DEP_2)
	v_add_f64_e32 v[0:1], v[16:17], v[0:1]
	v_fma_f64 v[10:11], v[22:23], s[52:53], v[8:9]
	v_fma_f64 v[8:9], v[22:23], s[28:29], v[8:9]
	s_delay_alu instid0(VALU_DEP_3) | instskip(SKIP_1) | instid1(VALU_DEP_1)
	v_add_f64_e32 v[0:1], v[2:3], v[0:1]
	v_fma_f64 v[2:3], v[92:93], s[34:35], v[150:151]
	v_add_f64_e32 v[2:3], v[16:17], v[2:3]
	s_delay_alu instid0(VALU_DEP_1) | instskip(SKIP_1) | instid1(VALU_DEP_1)
	v_add_f64_e32 v[2:3], v[4:5], v[2:3]
	v_fma_f64 v[4:5], v[22:23], s[40:41], v[24:25]
	v_add_f64_e32 v[0:1], v[4:5], v[0:1]
	v_fma_f64 v[4:5], v[22:23], s[46:47], v[26:27]
	s_delay_alu instid0(VALU_DEP_1) | instskip(SKIP_1) | instid1(VALU_DEP_1)
	v_add_f64_e32 v[2:3], v[4:5], v[2:3]
	v_fma_f64 v[4:5], v[34:35], s[24:25], v[36:37]
	v_add_f64_e32 v[0:1], v[4:5], v[0:1]
	v_fma_f64 v[4:5], v[34:35], s[56:57], v[38:39]
	;; [unrolled: 5-line block ×6, first 2 shown]
	s_delay_alu instid0(VALU_DEP_1) | instskip(SKIP_4) | instid1(VALU_DEP_2)
	v_add_f64_e32 v[2:3], v[4:5], v[2:3]
	v_add_nc_u32_e32 v4, 0x1b88, v155
	ds_store_2addr_b64 v4, v[0:1], v[2:3] offset1:1
	v_mul_f64_e32 v[0:1], s[14:15], v[140:141]
	v_mul_f64_e32 v[4:5], s[12:13], v[144:145]
	v_fma_f64 v[2:3], v[92:93], s[42:43], v[0:1]
	v_fma_f64 v[0:1], v[92:93], s[38:39], v[0:1]
	s_delay_alu instid0(VALU_DEP_3) | instskip(SKIP_1) | instid1(VALU_DEP_4)
	v_fma_f64 v[6:7], v[142:143], s[48:49], v[4:5]
	v_fma_f64 v[4:5], v[142:143], s[34:35], v[4:5]
	v_add_f64_e32 v[2:3], v[16:17], v[2:3]
	s_delay_alu instid0(VALU_DEP_4) | instskip(NEXT) | instid1(VALU_DEP_2)
	v_add_f64_e32 v[0:1], v[16:17], v[0:1]
	v_add_f64_e32 v[2:3], v[6:7], v[2:3]
	s_delay_alu instid0(VALU_DEP_2) | instskip(SKIP_1) | instid1(VALU_DEP_3)
	v_add_f64_e32 v[0:1], v[4:5], v[0:1]
	v_mul_f64_e32 v[4:5], s[4:5], v[32:33]
	v_add_f64_e32 v[2:3], v[10:11], v[2:3]
	s_delay_alu instid0(VALU_DEP_3) | instskip(NEXT) | instid1(VALU_DEP_3)
	v_add_f64_e32 v[0:1], v[8:9], v[0:1]
	v_fma_f64 v[6:7], v[34:35], s[44:45], v[4:5]
	v_fma_f64 v[4:5], v[34:35], s[26:27], v[4:5]
	v_mul_f64_e32 v[8:9], s[16:17], v[156:157]
	s_delay_alu instid0(VALU_DEP_3) | instskip(NEXT) | instid1(VALU_DEP_3)
	v_add_f64_e32 v[2:3], v[6:7], v[2:3]
	v_add_f64_e32 v[0:1], v[4:5], v[0:1]
	s_delay_alu instid0(VALU_DEP_3) | instskip(SKIP_2) | instid1(VALU_DEP_3)
	v_fma_f64 v[10:11], v[158:159], s[24:25], v[8:9]
	v_fma_f64 v[8:9], v[158:159], s[50:51], v[8:9]
	v_mul_f64_e32 v[4:5], s[18:19], v[168:169]
	v_add_f64_e32 v[2:3], v[10:11], v[2:3]
	s_delay_alu instid0(VALU_DEP_3) | instskip(NEXT) | instid1(VALU_DEP_3)
	v_add_f64_e32 v[0:1], v[8:9], v[0:1]
	v_fma_f64 v[6:7], v[170:171], s[30:31], v[4:5]
	v_fma_f64 v[4:5], v[170:171], s[46:47], v[4:5]
	v_mul_f64_e32 v[8:9], s[20:21], v[180:181]
	s_delay_alu instid0(VALU_DEP_3) | instskip(NEXT) | instid1(VALU_DEP_3)
	v_add_f64_e32 v[2:3], v[6:7], v[2:3]
	v_add_f64_e32 v[0:1], v[4:5], v[0:1]
	s_delay_alu instid0(VALU_DEP_3) | instskip(SKIP_2) | instid1(VALU_DEP_3)
	v_fma_f64 v[10:11], v[182:183], s[36:37], v[8:9]
	v_fma_f64 v[8:9], v[182:183], s[54:55], v[8:9]
	v_mul_f64_e32 v[4:5], s[22:23], v[192:193]
	v_add_f64_e32 v[2:3], v[10:11], v[2:3]
	s_delay_alu instid0(VALU_DEP_3) | instskip(NEXT) | instid1(VALU_DEP_3)
	v_add_f64_e32 v[0:1], v[8:9], v[0:1]
	v_fma_f64 v[6:7], v[194:195], s[40:41], v[4:5]
	v_fma_f64 v[4:5], v[194:195], s[56:57], v[4:5]
	s_delay_alu instid0(VALU_DEP_2) | instskip(NEXT) | instid1(VALU_DEP_2)
	v_add_f64_e32 v[2:3], v[6:7], v[2:3]
	v_add_f64_e32 v[0:1], v[4:5], v[0:1]
	;; [unrolled: 1-line block ×3, first 2 shown]
	v_add_nc_u32_e32 v6, 0x1b18, v155
	s_delay_alu instid0(VALU_DEP_2) | instskip(NEXT) | instid1(VALU_DEP_1)
	v_add_f64_e32 v[4:5], v[72:73], v[4:5]
	v_add_f64_e32 v[4:5], v[68:69], v[4:5]
	s_delay_alu instid0(VALU_DEP_1) | instskip(SKIP_2) | instid1(VALU_DEP_3)
	v_add_f64_e32 v[4:5], v[64:65], v[4:5]
	v_dual_mov_b32 v64, v100 :: v_dual_mov_b32 v65, v101
	v_dual_mov_b32 v66, v102 :: v_dual_mov_b32 v67, v103
	v_add_f64_e32 v[4:5], v[60:61], v[4:5]
	v_dual_mov_b32 v60, v96 :: v_dual_mov_b32 v63, v99
	v_dual_mov_b32 v61, v97 :: v_dual_mov_b32 v62, v98
	s_delay_alu instid0(VALU_DEP_3) | instskip(SKIP_2) | instid1(VALU_DEP_3)
	v_add_f64_e32 v[4:5], v[56:57], v[4:5]
	v_dual_mov_b32 v56, v88 :: v_dual_mov_b32 v59, v91
	v_dual_mov_b32 v57, v89 :: v_dual_mov_b32 v58, v90
	v_add_f64_e32 v[4:5], v[52:53], v[4:5]
	v_dual_mov_b32 v52, v84 :: v_dual_mov_b32 v55, v87
	v_dual_mov_b32 v53, v85 :: v_dual_mov_b32 v54, v86
	s_delay_alu instid0(VALU_DEP_3) | instskip(SKIP_2) | instid1(VALU_DEP_3)
	v_add_f64_e32 v[4:5], v[48:49], v[4:5]
	v_dual_mov_b32 v48, v80 :: v_dual_mov_b32 v51, v83
	v_dual_mov_b32 v49, v81 :: v_dual_mov_b32 v50, v82
	v_add_f64_e32 v[4:5], v[44:45], v[4:5]
	v_dual_mov_b32 v44, v76 :: v_dual_mov_b32 v47, v79
	v_dual_mov_b32 v45, v77 :: v_dual_mov_b32 v46, v78
	s_delay_alu instid0(VALU_DEP_3) | instskip(NEXT) | instid1(VALU_DEP_1)
	v_add_f64_e32 v[4:5], v[252:253], v[4:5]
	v_add_f64_e32 v[4:5], v[250:251], v[4:5]
	s_delay_alu instid0(VALU_DEP_1) | instskip(NEXT) | instid1(VALU_DEP_1)
	v_add_f64_e32 v[4:5], v[248:249], v[4:5]
	v_add_f64_e32 v[4:5], v[246:247], v[4:5]
	s_delay_alu instid0(VALU_DEP_1) | instskip(NEXT) | instid1(VALU_DEP_1)
	v_add_f64_e32 v[4:5], v[244:245], v[4:5]
	v_add_f64_e32 v[4:5], v[242:243], v[4:5]
	s_delay_alu instid0(VALU_DEP_1)
	v_add_f64_e32 v[4:5], v[240:241], v[4:5]
	ds_store_2addr_b64 v6, v[4:5], v[2:3] offset1:1
	ds_store_b64 v155, v[0:1] offset:7064
.LBB0_17:
	s_wait_alu 0xfffe
	s_or_b32 exec_lo, exec_lo, s1
	s_clause 0x1
	scratch_load_b128 v[72:75], off, off offset:256 th:TH_LOAD_LU
	scratch_load_b128 v[76:79], off, off offset:272 th:TH_LOAD_LU
	v_add_f64_e32 v[0:1], v[122:123], v[94:95]
	v_add_f64_e64 v[2:3], v[120:121], -v[44:45]
	v_add_f64_e64 v[4:5], v[124:125], -v[48:49]
	v_add_f64_e32 v[10:11], v[46:47], v[122:123]
	v_add_f64_e64 v[6:7], v[128:129], -v[52:53]
	v_add_f64_e32 v[12:13], v[50:51], v[126:127]
	v_add_f64_e64 v[34:35], v[108:109], -v[104:105]
	v_add_f64_e64 v[8:9], v[132:133], -v[56:57]
	v_add_f64_e32 v[14:15], v[54:55], v[130:131]
	v_add_f64_e64 v[22:23], v[116:117], -v[60:61]
	v_add_f64_e32 v[24:25], v[66:67], v[114:115]
	v_add_f64_e32 v[28:29], v[106:107], v[110:111]
	;; [unrolled: 1-line block ×3, first 2 shown]
	v_add_f64_e64 v[26:27], v[112:113], -v[64:65]
	v_add_f64_e32 v[16:17], v[58:59], v[134:135]
	v_dual_mov_b32 v70, v106 :: v_dual_mov_b32 v71, v107
	global_wb scope:SCOPE_SE
	s_wait_storecnt 0x0
	s_wait_loadcnt_dscnt 0x0
	s_wait_kmcnt 0x0
	s_barrier_signal -1
	s_barrier_wait -1
	global_inv scope:SCOPE_SE
	v_add_f64_e32 v[0:1], v[126:127], v[0:1]
	v_mul_f64_e32 v[30:31], s[42:43], v[2:3]
	v_mul_f64_e32 v[32:33], s[48:49], v[2:3]
	;; [unrolled: 1-line block ×32, first 2 shown]
	v_add_f64_e32 v[0:1], v[130:131], v[0:1]
	v_fma_f64 v[144:145], v[10:11], s[14:15], -v[30:31]
	v_fma_f64 v[146:147], v[10:11], s[12:13], -v[32:33]
	v_fma_f64 v[32:33], v[10:11], s[12:13], v[32:33]
	v_fma_f64 v[148:149], v[10:11], s[4:5], -v[36:37]
	v_fma_f64 v[36:37], v[10:11], s[4:5], v[36:37]
	v_fma_f64 v[150:151], v[10:11], s[16:17], -v[40:41]
	v_fma_f64 v[152:153], v[10:11], s[18:19], -v[42:43]
	v_fma_f64 v[42:43], v[10:11], s[18:19], v[42:43]
	v_fma_f64 v[40:41], v[10:11], s[16:17], v[40:41]
	v_fma_f64 v[168:169], v[12:13], s[12:13], -v[80:81]
	v_fma_f64 v[80:81], v[12:13], s[12:13], v[80:81]
	v_fma_f64 v[170:171], v[12:13], s[4:5], -v[84:85]
	;; [unrolled: 2-line block ×8, first 2 shown]
	v_fma_f64 v[4:5], v[12:13], s[14:15], v[4:5]
	v_mul_f64_e32 v[130:131], s[52:53], v[8:9]
	v_fma_f64 v[186:187], v[14:15], s[10:11], -v[108:109]
	v_fma_f64 v[194:195], v[14:15], s[12:13], -v[116:117]
	v_fma_f64 v[108:109], v[14:15], s[10:11], v[108:109]
	v_fma_f64 v[190:191], v[14:15], s[22:23], -v[112:113]
	v_fma_f64 v[112:113], v[14:15], s[22:23], v[112:113]
	v_fma_f64 v[116:117], v[14:15], s[12:13], v[116:117]
	v_fma_f64 v[198:199], v[14:15], s[4:5], -v[120:121]
	v_fma_f64 v[120:121], v[14:15], s[4:5], v[120:121]
	v_add_f64_e32 v[0:1], v[134:135], v[0:1]
	v_add_f64_e32 v[12:13], v[94:95], v[144:145]
	;; [unrolled: 1-line block ×10, first 2 shown]
	v_mul_f64_e32 v[134:135], s[46:47], v[8:9]
	v_mul_f64_e32 v[8:9], s[34:35], v[8:9]
	v_add_f64_e32 v[0:1], v[118:119], v[0:1]
	v_mul_f64_e32 v[118:119], s[42:43], v[6:7]
	v_add_f64_e32 v[12:13], v[168:169], v[12:13]
	v_add_f64_e32 v[32:33], v[84:85], v[32:33]
	;; [unrolled: 1-line block ×5, first 2 shown]
	v_fma_f64 v[148:149], v[16:17], s[22:23], -v[124:125]
	v_add_f64_e32 v[42:43], v[100:101], v[42:43]
	v_add_f64_e32 v[40:41], v[96:97], v[40:41]
	v_fma_f64 v[124:125], v[16:17], s[22:23], v[124:125]
	v_fma_f64 v[168:169], v[16:17], s[18:19], -v[134:135]
	v_fma_f64 v[134:135], v[16:17], s[18:19], v[134:135]
	v_mul_f64_e32 v[96:97], s[40:41], v[26:27]
	v_fma_f64 v[174:175], v[20:21], s[14:15], -v[166:167]
	v_fma_f64 v[166:167], v[20:21], s[14:15], v[166:167]
	v_add_f64_e32 v[0:1], v[114:115], v[0:1]
	v_mul_f64_e32 v[114:115], s[50:51], v[6:7]
	v_fma_f64 v[196:197], v[14:15], s[14:15], -v[118:119]
	v_fma_f64 v[118:119], v[14:15], s[14:15], v[118:119]
	v_add_f64_e32 v[12:13], v[186:187], v[12:13]
	v_add_f64_e32 v[40:41], v[116:117], v[40:41]
	v_fma_f64 v[116:117], v[20:21], s[16:17], -v[140:141]
	v_add_f64_e32 v[0:1], v[110:111], v[0:1]
	v_mul_f64_e32 v[110:111], s[30:31], v[6:7]
	v_mul_f64_e32 v[6:7], s[36:37], v[6:7]
	v_fma_f64 v[192:193], v[14:15], s[16:17], -v[114:115]
	v_fma_f64 v[114:115], v[14:15], s[16:17], v[114:115]
	v_add_f64_e32 v[42:43], v[118:119], v[42:43]
	v_fma_f64 v[118:119], v[20:21], s[16:17], v[140:141]
	v_fma_f64 v[140:141], v[20:21], s[20:21], v[142:143]
	v_fma_f64 v[188:189], v[14:15], s[18:19], -v[110:111]
	v_fma_f64 v[110:111], v[14:15], s[18:19], v[110:111]
	v_fma_f64 v[200:201], v[14:15], s[20:21], -v[6:7]
	v_fma_f64 v[6:7], v[14:15], s[20:21], v[6:7]
	v_add_f64_e32 v[14:15], v[170:171], v[144:145]
	v_add_f64_e32 v[144:145], v[178:179], v[150:151]
	v_fma_f64 v[150:151], v[16:17], s[16:17], -v[126:127]
	v_fma_f64 v[126:127], v[16:17], s[16:17], v[126:127]
	v_fma_f64 v[170:171], v[16:17], s[12:13], -v[8:9]
	v_fma_f64 v[8:9], v[16:17], s[12:13], v[8:9]
	v_add_f64_e32 v[36:37], v[114:115], v[36:37]
	v_mul_f64_e32 v[114:115], s[40:41], v[34:35]
	v_add_f64_e32 v[14:15], v[188:189], v[14:15]
	v_add_f64_e64 v[68:69], v[76:77], -v[72:73]
	v_mul_f64_e32 v[72:73], s[36:37], v[2:3]
	v_mul_f64_e32 v[76:77], s[40:41], v[2:3]
	;; [unrolled: 1-line block ×3, first 2 shown]
	v_add_f64_e32 v[0:1], v[78:79], v[0:1]
	v_add_f64_e32 v[38:39], v[74:75], v[78:79]
	;; [unrolled: 1-line block ×3, first 2 shown]
	v_mul_f64_e32 v[86:87], s[40:41], v[68:69]
	v_fma_f64 v[156:157], v[10:11], s[20:21], -v[72:73]
	v_fma_f64 v[158:159], v[10:11], s[22:23], -v[76:77]
	v_fma_f64 v[76:77], v[10:11], s[22:23], v[76:77]
	v_fma_f64 v[72:73], v[10:11], s[20:21], v[72:73]
	;; [unrolled: 1-line block ×3, first 2 shown]
	v_fma_f64 v[2:3], v[10:11], s[10:11], -v[2:3]
	v_fma_f64 v[10:11], v[10:11], s[14:15], v[30:31]
	v_add_f64_e32 v[0:1], v[74:75], v[0:1]
	v_mul_f64_e32 v[30:31], s[34:35], v[22:23]
	v_mul_f64_e32 v[22:23], s[30:31], v[22:23]
	;; [unrolled: 1-line block ×3, first 2 shown]
	v_fma_f64 v[78:79], v[38:39], s[22:23], v[86:87]
	v_add_f64_e32 v[152:153], v[94:95], v[156:157]
	v_add_f64_e32 v[156:157], v[94:95], v[158:159]
	;; [unrolled: 1-line block ×8, first 2 shown]
	v_mul_f64_e32 v[94:95], s[30:31], v[26:27]
	v_mul_f64_e32 v[160:161], s[42:43], v[26:27]
	v_fma_f64 v[176:177], v[20:21], s[18:19], -v[22:23]
	v_add_f64_e32 v[100:101], v[180:181], v[152:153]
	v_add_f64_e32 v[146:147], v[182:183], v[156:157]
	;; [unrolled: 1-line block ×7, first 2 shown]
	v_fma_f64 v[104:105], v[16:17], s[4:5], -v[122:123]
	v_fma_f64 v[122:123], v[16:17], s[4:5], v[122:123]
	v_fma_f64 v[152:153], v[16:17], s[14:15], -v[128:129]
	v_fma_f64 v[128:129], v[16:17], s[14:15], v[128:129]
	v_fma_f64 v[156:157], v[16:17], s[10:11], -v[130:131]
	v_fma_f64 v[130:131], v[16:17], s[10:11], v[130:131]
	v_fma_f64 v[158:159], v[16:17], s[20:21], -v[132:133]
	v_fma_f64 v[132:133], v[16:17], s[20:21], v[132:133]
	v_add_f64_e32 v[16:17], v[110:111], v[32:33]
	v_add_f64_e32 v[32:33], v[192:193], v[84:85]
	;; [unrolled: 1-line block ×5, first 2 shown]
	v_mul_f64_e32 v[80:81], s[26:27], v[26:27]
	v_mul_f64_e32 v[88:89], s[48:49], v[26:27]
	;; [unrolled: 1-line block ×3, first 2 shown]
	v_fma_f64 v[144:145], v[20:21], s[10:11], -v[106:107]
	v_fma_f64 v[106:107], v[20:21], s[10:11], v[106:107]
	v_fma_f64 v[172:173], v[20:21], s[4:5], -v[164:165]
	v_fma_f64 v[164:165], v[20:21], s[4:5], v[164:165]
	v_add_f64_e32 v[100:101], v[198:199], v[100:101]
	v_add_f64_e32 v[110:111], v[200:201], v[146:147]
	;; [unrolled: 1-line block ×7, first 2 shown]
	v_fma_f64 v[120:121], v[20:21], s[20:21], -v[142:143]
	v_fma_f64 v[142:143], v[20:21], s[12:13], -v[30:31]
	v_fma_f64 v[30:31], v[20:21], s[12:13], v[30:31]
	v_fma_f64 v[146:147], v[20:21], s[22:23], -v[162:163]
	v_fma_f64 v[162:163], v[20:21], s[22:23], v[162:163]
	v_fma_f64 v[20:21], v[20:21], s[18:19], v[22:23]
	v_add_f64_e32 v[12:13], v[104:105], v[12:13]
	v_add_f64_e32 v[42:43], v[132:133], v[42:43]
	;; [unrolled: 1-line block ×8, first 2 shown]
	v_mul_f64_e32 v[108:109], s[46:47], v[34:35]
	v_mul_f64_e32 v[112:113], s[42:43], v[34:35]
	v_fma_f64 v[124:125], v[24:25], s[16:17], -v[102:103]
	v_fma_f64 v[102:103], v[24:25], s[16:17], v[102:103]
	v_fma_f64 v[128:129], v[24:25], s[14:15], v[160:161]
	;; [unrolled: 1-line block ×3, first 2 shown]
	v_fma_f64 v[148:149], v[24:25], s[12:13], -v[88:89]
	v_fma_f64 v[88:89], v[24:25], s[12:13], v[88:89]
	v_fma_f64 v[152:153], v[24:25], s[10:11], -v[26:27]
	v_mul_f64_e32 v[76:77], s[28:29], v[34:35]
	v_mul_f64_e32 v[104:105], s[38:39], v[68:69]
	v_add_f64_e32 v[92:93], v[168:169], v[100:101]
	v_add_f64_e32 v[100:101], v[170:171], v[110:111]
	;; [unrolled: 1-line block ×8, first 2 shown]
	v_fma_f64 v[122:123], v[24:25], s[18:19], -v[94:95]
	v_fma_f64 v[94:95], v[24:25], s[18:19], v[94:95]
	v_fma_f64 v[126:127], v[24:25], s[14:15], -v[160:161]
	v_fma_f64 v[130:131], v[24:25], s[20:21], -v[184:185]
	;; [unrolled: 1-line block ×3, first 2 shown]
	v_fma_f64 v[80:81], v[24:25], s[4:5], v[80:81]
	v_fma_f64 v[150:151], v[24:25], s[22:23], -v[96:97]
	v_fma_f64 v[96:97], v[24:25], s[22:23], v[96:97]
	v_fma_f64 v[24:25], v[24:25], s[10:11], v[26:27]
	v_add_f64_e32 v[12:13], v[116:117], v[12:13]
	v_add_f64_e32 v[22:23], v[144:145], v[22:23]
	;; [unrolled: 1-line block ×4, first 2 shown]
	v_mul_f64_e32 v[72:73], s[34:35], v[34:35]
	v_mul_f64_e32 v[34:35], s[24:25], v[34:35]
	v_add_f64_e32 v[36:37], v[172:173], v[84:85]
	v_add_f64_e32 v[42:43], v[164:165], v[42:43]
	;; [unrolled: 1-line block ×5, first 2 shown]
	v_fma_f64 v[106:107], v[28:29], s[20:21], -v[98:99]
	v_fma_f64 v[120:121], v[28:29], s[18:19], -v[108:109]
	v_fma_f64 v[108:109], v[28:29], s[18:19], v[108:109]
	v_fma_f64 v[140:141], v[28:29], s[14:15], -v[112:113]
	v_fma_f64 v[98:99], v[28:29], s[20:21], v[98:99]
	;; [unrolled: 2-line block ×3, first 2 shown]
	v_fma_f64 v[112:113], v[28:29], s[14:15], v[112:113]
	v_mul_f64_e32 v[110:111], s[36:37], v[68:69]
	v_add_f64_e32 v[84:85], v[174:175], v[92:93]
	v_add_f64_e32 v[92:93], v[176:177], v[100:101]
	;; [unrolled: 1-line block ×8, first 2 shown]
	v_mul_f64_e32 v[30:31], s[34:35], v[68:69]
	v_mul_f64_e32 v[40:41], s[30:31], v[68:69]
	;; [unrolled: 1-line block ×3, first 2 shown]
	v_fma_f64 v[118:119], v[28:29], s[4:5], -v[90:91]
	v_fma_f64 v[90:91], v[28:29], s[4:5], v[90:91]
	v_fma_f64 v[142:143], v[28:29], s[22:23], -v[114:115]
	v_fma_f64 v[114:115], v[28:29], s[22:23], v[114:115]
	v_mul_f64_e32 v[68:69], s[26:27], v[68:69]
	v_add_f64_e32 v[12:13], v[122:123], v[12:13]
	v_add_f64_e32 v[22:23], v[130:131], v[22:23]
	;; [unrolled: 1-line block ×4, first 2 shown]
	v_fma_f64 v[144:145], v[28:29], s[12:13], -v[72:73]
	v_fma_f64 v[72:73], v[28:29], s[12:13], v[72:73]
	v_fma_f64 v[146:147], v[28:29], s[16:17], -v[34:35]
	v_fma_f64 v[28:29], v[28:29], s[16:17], v[34:35]
	v_add_f64_e32 v[34:35], v[148:149], v[36:37]
	v_add_f64_e32 v[36:37], v[88:89], v[42:43]
	;; [unrolled: 1-line block ×5, first 2 shown]
	v_fma_f64 v[102:103], v[38:39], s[10:11], -v[82:83]
	v_fma_f64 v[82:83], v[38:39], s[10:11], v[82:83]
	v_add_nc_u32_e32 v122, 51, v154
	v_fma_f64 v[88:89], v[38:39], s[20:21], -v[110:111]
	v_add_f64_e32 v[42:43], v[150:151], v[84:85]
	v_add_f64_e32 v[84:85], v[152:153], v[92:93]
	;; [unrolled: 1-line block ×8, first 2 shown]
	v_fma_f64 v[24:25], v[38:39], s[22:23], -v[86:87]
	v_fma_f64 v[94:95], v[38:39], s[12:13], -v[30:31]
	v_fma_f64 v[30:31], v[38:39], s[12:13], v[30:31]
	v_fma_f64 v[96:97], v[38:39], s[18:19], -v[40:41]
	v_fma_f64 v[80:81], v[38:39], s[14:15], -v[104:105]
	v_fma_f64 v[86:87], v[38:39], s[14:15], v[104:105]
	v_fma_f64 v[104:105], v[38:39], s[16:17], -v[100:101]
	v_fma_f64 v[92:93], v[38:39], s[20:21], v[110:111]
	v_fma_f64 v[40:41], v[38:39], s[18:19], v[40:41]
	v_add_f64_e32 v[12:13], v[106:107], v[12:13]
	v_add_f64_e32 v[22:23], v[120:121], v[22:23]
	;; [unrolled: 1-line block ×4, first 2 shown]
	v_fma_f64 v[100:101], v[38:39], s[16:17], v[100:101]
	v_fma_f64 v[110:111], v[38:39], s[4:5], -v[68:69]
	v_fma_f64 v[38:39], v[38:39], s[4:5], v[68:69]
	v_add_f64_e32 v[34:35], v[142:143], v[34:35]
	v_add_f64_e32 v[36:37], v[114:115], v[36:37]
	;; [unrolled: 1-line block ×13, first 2 shown]
	v_lshlrev_b32_e32 v28, 7, v154
	s_delay_alu instid0(VALU_DEP_1)
	v_sub_nc_u32_e32 v144, v155, v28
	v_add_f64_e32 v[12:13], v[24:25], v[12:13]
	v_add_f64_e32 v[22:23], v[94:95], v[22:23]
	;; [unrolled: 1-line block ×4, first 2 shown]
	v_add_nc_u32_e32 v124, 0x800, v144
	v_add_nc_u32_e32 v123, 0x1800, v144
	;; [unrolled: 1-line block ×4, first 2 shown]
	v_add_f64_e32 v[28:29], v[102:103], v[34:35]
	v_add_f64_e32 v[30:31], v[82:83], v[36:37]
	v_add_f64_e32 v[16:17], v[86:87], v[16:17]
	v_add_f64_e32 v[0:1], v[46:47], v[0:1]
	v_add_f64_e32 v[14:15], v[80:81], v[14:15]
	ds_load_2addr_b64 v[72:75], v144 offset1:51
	v_add_nc_u32_e32 v126, 0x1000, v144
	v_add_nc_u32_e32 v127, 0x2000, v144
	v_add_f64_e32 v[32:33], v[104:105], v[42:43]
	v_add_f64_e32 v[34:35], v[110:111], v[68:69]
	;; [unrolled: 1-line block ×8, first 2 shown]
	ds_load_2addr_b64 v[68:71], v144 offset0:102 offset1:153
	ds_load_2addr_b64 v[76:79], v144 offset0:204 offset1:255
	ds_load_b64 v[120:121], v144 offset:10608
	ds_load_2addr_b64 v[80:83], v124 offset0:152 offset1:203
	ds_load_2addr_b64 v[116:119], v123 offset0:150 offset1:201
	;; [unrolled: 1-line block ×10, first 2 shown]
	global_wb scope:SCOPE_SE
	s_wait_dscnt 0x0
	s_barrier_signal -1
	s_barrier_wait -1
	global_inv scope:SCOPE_SE
	ds_store_2addr_b64 v155, v[22:23], v[26:27] offset0:4 offset1:5
	ds_store_2addr_b64 v155, v[28:29], v[32:33] offset0:6 offset1:7
	;; [unrolled: 1-line block ×6, first 2 shown]
	ds_store_2addr_b64 v155, v[0:1], v[12:13] offset1:1
	ds_store_2addr_b64 v155, v[14:15], v[2:3] offset0:2 offset1:3
	ds_store_b64 v155, v[10:11] offset:128
	s_and_saveexec_b32 s33, s0
	s_cbranch_execz .LBB0_19
; %bb.18:
	s_clause 0xf
	scratch_load_b128 v[4:7], off, off offset:240 th:TH_LOAD_LU
	scratch_load_b128 v[8:11], off, off offset:224 th:TH_LOAD_LU
	;; [unrolled: 1-line block ×6, first 2 shown]
	scratch_load_b128 v[223:226], off, off th:TH_LOAD_LU
	scratch_load_b128 v[227:230], off, off offset:16 th:TH_LOAD_LU
	scratch_load_b128 v[231:234], off, off offset:32 th:TH_LOAD_LU
	;; [unrolled: 1-line block ×9, first 2 shown]
	s_mov_b32 s26, 0x5d8e7cdc
	s_mov_b32 s36, 0x2a9d6da3
	;; [unrolled: 1-line block ×30, first 2 shown]
	s_wait_alu 0xfffe
	s_mov_b32 s52, s28
	s_mov_b32 s48, s20
	;; [unrolled: 1-line block ×14, first 2 shown]
	s_wait_loadcnt 0xf
	v_add_f64_e32 v[0:1], v[6:7], v[18:19]
	s_wait_loadcnt 0x9
	v_add_f64_e64 v[4:5], v[4:5], -v[223:224]
	v_add_f64_e32 v[2:3], v[225:226], v[6:7]
	s_wait_loadcnt 0x8
	v_add_f64_e64 v[8:9], v[8:9], -v[227:228]
	v_add_f64_e32 v[6:7], v[229:230], v[10:11]
	s_wait_loadcnt 0x7
	v_add_f64_e64 v[12:13], v[12:13], -v[231:232]
	s_wait_loadcnt 0x6
	v_add_f64_e64 v[16:17], v[30:31], -v[235:236]
	s_wait_loadcnt 0x5
	v_add_f64_e32 v[20:21], v[241:242], v[24:25]
	s_wait_loadcnt 0x2
	v_add_f64_e64 v[30:31], v[54:55], -v[247:248]
	s_wait_loadcnt 0x0
	v_add_f64_e64 v[34:35], v[179:180], -v[203:204]
	v_add_f64_e64 v[22:23], v[22:23], -v[239:240]
	;; [unrolled: 1-line block ×3, first 2 shown]
	v_add_f64_e32 v[0:1], v[10:11], v[0:1]
	v_add_f64_e32 v[10:11], v[233:234], v[14:15]
	v_mul_f64_e32 v[36:37], s[26:27], v[4:5]
	v_mul_f64_e32 v[38:39], s[36:37], v[4:5]
	;; [unrolled: 1-line block ×11, first 2 shown]
	s_wait_alu 0xfffe
	v_mul_f64_e32 v[58:59], s[52:53], v[8:9]
	v_mul_f64_e32 v[60:61], s[48:49], v[8:9]
	v_mul_f64_e32 v[62:63], s[30:31], v[8:9]
	v_mul_f64_e32 v[64:65], s[44:45], v[12:13]
	v_mul_f64_e32 v[66:67], s[24:25], v[12:13]
	v_mul_f64_e32 v[131:132], s[48:49], v[12:13]
	v_mul_f64_e32 v[133:134], s[40:41], v[12:13]
	v_mul_f64_e32 v[129:130], s[54:55], v[12:13]
	v_mul_f64_e32 v[140:141], s[26:27], v[12:13]
	v_mul_f64_e32 v[142:143], s[34:35], v[12:13]
	v_mul_f64_e32 v[12:13], s[28:29], v[12:13]
	v_mul_f64_e32 v[145:146], s[34:35], v[16:17]
	v_mul_f64_e32 v[147:148], s[38:39], v[16:17]
	v_mul_f64_e32 v[149:150], s[48:49], v[16:17]
	v_mul_f64_e32 v[151:152], s[42:43], v[16:17]
	v_mul_f64_e32 v[155:156], s[44:45], v[16:17]
	v_mul_f64_e32 v[157:158], s[28:29], v[16:17]
	v_mul_f64_e32 v[159:160], s[50:51], v[16:17]
	v_mul_f64_e32 v[16:17], s[40:41], v[16:17]
	v_mul_f64_e32 v[161:162], s[20:21], v[22:23]
	v_mul_f64_e32 v[163:164], s[52:53], v[22:23]
	v_add_f64_e32 v[0:1], v[14:15], v[0:1]
	v_add_f64_e32 v[14:15], v[237:238], v[32:33]
	v_mul_f64_e32 v[183:184], s[38:39], v[22:23]
	v_mul_f64_e32 v[185:186], s[46:47], v[22:23]
	;; [unrolled: 1-line block ×4, first 2 shown]
	v_fma_f64 v[165:166], v[2:3], s[0:1], -v[36:37]
	v_fma_f64 v[167:168], v[2:3], s[4:5], -v[38:39]
	v_fma_f64 v[38:39], v[2:3], s[4:5], v[38:39]
	v_fma_f64 v[169:170], v[2:3], s[12:13], -v[40:41]
	v_fma_f64 v[40:41], v[2:3], s[12:13], v[40:41]
	v_fma_f64 v[171:172], v[2:3], s[14:15], -v[42:43]
	v_fma_f64 v[173:174], v[2:3], s[16:17], -v[44:45]
	v_fma_f64 v[44:45], v[2:3], s[16:17], v[44:45]
	v_fma_f64 v[175:176], v[2:3], s[18:19], -v[46:47]
	v_fma_f64 v[177:178], v[2:3], s[22:23], -v[48:49]
	v_fma_f64 v[48:49], v[2:3], s[22:23], v[48:49]
	v_fma_f64 v[46:47], v[2:3], s[18:19], v[46:47]
	;; [unrolled: 1-line block ×4, first 2 shown]
	v_fma_f64 v[4:5], v[2:3], s[10:11], -v[4:5]
	v_fma_f64 v[2:3], v[2:3], s[0:1], v[36:37]
	v_fma_f64 v[189:190], v[6:7], s[4:5], -v[50:51]
	v_fma_f64 v[50:51], v[6:7], s[4:5], v[50:51]
	;; [unrolled: 2-line block ×7, first 2 shown]
	v_fma_f64 v[209:210], v[10:11], s[10:11], -v[64:65]
	v_fma_f64 v[211:212], v[10:11], s[16:17], -v[66:67]
	v_fma_f64 v[66:67], v[10:11], s[16:17], v[66:67]
	v_fma_f64 v[215:216], v[10:11], s[14:15], -v[131:132]
	v_add_f64_e32 v[0:1], v[32:33], v[0:1]
	v_fma_f64 v[131:132], v[10:11], s[14:15], v[131:132]
	v_fma_f64 v[217:218], v[10:11], s[4:5], -v[133:134]
	v_fma_f64 v[64:65], v[10:11], s[10:11], v[64:65]
	v_fma_f64 v[213:214], v[10:11], s[22:23], -v[129:130]
	v_fma_f64 v[129:130], v[10:11], s[22:23], v[129:130]
	v_fma_f64 v[133:134], v[10:11], s[4:5], v[133:134]
	v_fma_f64 v[219:220], v[10:11], s[0:1], -v[140:141]
	v_add_f64_e32 v[38:39], v[18:19], v[38:39]
	v_fma_f64 v[140:141], v[10:11], s[0:1], v[140:141]
	v_add_f64_e32 v[40:41], v[18:19], v[40:41]
	v_fma_f64 v[221:222], v[10:11], s[12:13], -v[142:143]
	v_fma_f64 v[142:143], v[10:11], s[12:13], v[142:143]
	v_add_f64_e32 v[44:45], v[18:19], v[44:45]
	v_fma_f64 v[223:224], v[10:11], s[18:19], -v[12:13]
	v_fma_f64 v[10:11], v[10:11], s[18:19], v[12:13]
	v_add_f64_e32 v[48:49], v[18:19], v[48:49]
	v_add_f64_e32 v[46:47], v[18:19], v[46:47]
	;; [unrolled: 1-line block ×6, first 2 shown]
	v_mul_f64_e32 v[36:37], s[40:41], v[22:23]
	v_add_f64_e32 v[0:1], v[24:25], v[0:1]
	v_add_f64_e32 v[24:25], v[245:246], v[28:29]
	;; [unrolled: 1-line block ×6, first 2 shown]
	v_mul_f64_e32 v[58:59], s[38:39], v[26:27]
	v_add_f64_e32 v[4:5], v[193:194], v[4:5]
	v_add_f64_e32 v[2:3], v[50:51], v[2:3]
	v_fma_f64 v[193:194], v[14:15], s[4:5], -v[16:17]
	v_mul_f64_e32 v[50:51], s[46:47], v[26:27]
	v_mul_f64_e32 v[62:63], s[28:29], v[30:31]
	v_add_f64_e32 v[0:1], v[28:29], v[0:1]
	v_add_f64_e32 v[28:29], v[249:250], v[56:57]
	;; [unrolled: 1-line block ×3, first 2 shown]
	v_fma_f64 v[140:141], v[20:21], s[14:15], -v[161:162]
	v_add_f64_e32 v[42:43], v[133:134], v[42:43]
	v_mul_f64_e32 v[133:134], s[38:39], v[30:31]
	v_add_f64_e32 v[4:5], v[213:214], v[4:5]
	v_add_f64_e32 v[2:3], v[64:65], v[2:3]
	v_mul_f64_e32 v[64:65], s[34:35], v[30:31]
	v_add_f64_e32 v[0:1], v[56:57], v[0:1]
	v_mul_f64_e32 v[56:57], s[38:39], v[8:9]
	v_mul_f64_e32 v[8:9], s[42:43], v[8:9]
	s_delay_alu instid0(VALU_DEP_3) | instskip(NEXT) | instid1(VALU_DEP_3)
	v_add_f64_e32 v[0:1], v[181:182], v[0:1]
	v_fma_f64 v[195:196], v[6:7], s[22:23], -v[56:57]
	v_fma_f64 v[56:57], v[6:7], s[22:23], v[56:57]
	s_delay_alu instid0(VALU_DEP_4)
	v_fma_f64 v[203:204], v[6:7], s[0:1], -v[8:9]
	v_fma_f64 v[6:7], v[6:7], s[0:1], v[8:9]
	v_add_f64_e32 v[8:9], v[18:19], v[165:166]
	v_add_f64_e32 v[165:166], v[18:19], v[167:168]
	;; [unrolled: 1-line block ×8, first 2 shown]
	v_mul_f64_e32 v[181:182], s[44:45], v[22:23]
	v_mul_f64_e32 v[18:19], s[24:25], v[22:23]
	;; [unrolled: 1-line block ×4, first 2 shown]
	v_add_f64_e32 v[0:1], v[205:206], v[0:1]
	v_mul_f64_e32 v[205:206], s[26:27], v[26:27]
	v_add_f64_e32 v[40:41], v[56:57], v[40:41]
	v_add_f64_e32 v[6:7], v[6:7], v[48:49]
	;; [unrolled: 1-line block ×10, first 2 shown]
	v_fma_f64 v[169:170], v[14:15], s[12:13], -v[145:146]
	v_fma_f64 v[145:146], v[14:15], s[12:13], v[145:146]
	v_fma_f64 v[171:172], v[14:15], s[22:23], -v[147:148]
	v_fma_f64 v[147:148], v[14:15], s[22:23], v[147:148]
	v_fma_f64 v[173:174], v[14:15], s[14:15], -v[149:150]
	v_fma_f64 v[149:150], v[14:15], s[14:15], v[149:150]
	v_fma_f64 v[175:176], v[14:15], s[0:1], -v[151:152]
	v_fma_f64 v[151:152], v[14:15], s[0:1], v[151:152]
	v_fma_f64 v[177:178], v[14:15], s[10:11], -v[155:156]
	v_fma_f64 v[155:156], v[14:15], s[10:11], v[155:156]
	v_fma_f64 v[189:190], v[14:15], s[18:19], -v[157:158]
	v_fma_f64 v[157:158], v[14:15], s[18:19], v[157:158]
	v_fma_f64 v[191:192], v[14:15], s[16:17], -v[159:160]
	v_fma_f64 v[159:160], v[14:15], s[16:17], v[159:160]
	v_fma_f64 v[14:15], v[14:15], s[4:5], v[16:17]
	v_add_f64_e32 v[16:17], v[66:67], v[38:39]
	v_mul_f64_e32 v[54:55], s[36:37], v[26:27]
	v_mul_f64_e32 v[26:27], s[30:31], v[26:27]
	v_fma_f64 v[195:196], v[20:21], s[22:23], -v[183:184]
	v_fma_f64 v[183:184], v[20:21], s[22:23], v[183:184]
	v_fma_f64 v[197:198], v[20:21], s[12:13], -v[185:186]
	v_fma_f64 v[185:186], v[20:21], s[12:13], v[185:186]
	;; [unrolled: 2-line block ×3, first 2 shown]
	v_fma_f64 v[201:202], v[20:21], s[16:17], -v[18:19]
	v_add_f64_e32 v[0:1], v[249:250], v[0:1]
	v_fma_f64 v[18:19], v[20:21], s[16:17], v[18:19]
	v_add_f64_e32 v[40:41], v[131:132], v[40:41]
	v_mul_f64_e32 v[131:132], s[26:27], v[30:31]
	v_add_f64_e32 v[6:7], v[10:11], v[6:7]
	v_add_f64_e32 v[8:9], v[209:210], v[8:9]
	;; [unrolled: 1-line block ×10, first 2 shown]
	v_fma_f64 v[142:143], v[20:21], s[14:15], v[161:162]
	v_fma_f64 v[161:162], v[20:21], s[18:19], -v[163:164]
	v_fma_f64 v[163:164], v[20:21], s[18:19], v[163:164]
	v_fma_f64 v[165:166], v[20:21], s[4:5], -v[36:37]
	;; [unrolled: 2-line block ×3, first 2 shown]
	v_fma_f64 v[181:182], v[20:21], s[10:11], v[181:182]
	v_add_f64_e32 v[4:5], v[173:174], v[4:5]
	v_add_f64_e32 v[2:3], v[145:146], v[2:3]
	v_mul_f64_e32 v[48:49], s[30:31], v[30:31]
	v_add_f64_e32 v[44:45], v[157:158], v[44:45]
	v_mul_f64_e32 v[129:130], s[50:51], v[30:31]
	v_fma_f64 v[157:158], v[24:25], s[0:1], -v[205:206]
	v_fma_f64 v[173:174], v[24:25], s[12:13], -v[50:51]
	v_add_f64_e32 v[16:17], v[147:148], v[16:17]
	v_fma_f64 v[50:51], v[24:25], s[12:13], v[50:51]
	v_mul_f64_e32 v[145:146], s[42:43], v[34:35]
	v_mul_f64_e32 v[147:148], s[28:29], v[34:35]
	v_add_f64_e32 v[0:1], v[245:246], v[0:1]
	v_add_f64_e32 v[6:7], v[14:15], v[6:7]
	v_add_f64_e32 v[8:9], v[169:170], v[8:9]
	v_add_f64_e32 v[10:11], v[159:160], v[10:11]
	v_add_f64_e32 v[20:21], v[175:176], v[38:39]
	v_add_f64_e32 v[38:39], v[151:152], v[40:41]
	v_add_f64_e32 v[40:41], v[177:178], v[52:53]
	v_add_f64_e32 v[52:53], v[189:190], v[56:57]
	v_add_f64_e32 v[56:57], v[191:192], v[60:61]
	v_add_f64_e32 v[60:61], v[193:194], v[66:67]
	v_add_f64_e32 v[14:15], v[155:156], v[42:43]
	v_add_f64_e32 v[42:43], v[149:150], v[46:47]
	v_add_f64_e32 v[12:13], v[171:172], v[12:13]
	v_mul_f64_e32 v[46:47], s[40:41], v[30:31]
	v_mul_f64_e32 v[30:31], s[20:21], v[30:31]
	v_fma_f64 v[149:150], v[24:25], s[16:17], -v[22:23]
	v_fma_f64 v[22:23], v[24:25], s[16:17], v[22:23]
	v_fma_f64 v[151:152], v[24:25], s[14:15], -v[179:180]
	v_fma_f64 v[155:156], v[24:25], s[14:15], v[179:180]
	v_fma_f64 v[159:160], v[24:25], s[0:1], v[205:206]
	v_fma_f64 v[169:170], v[24:25], s[18:19], -v[207:208]
	v_fma_f64 v[171:172], v[24:25], s[18:19], v[207:208]
	v_fma_f64 v[175:176], v[24:25], s[4:5], -v[54:55]
	v_fma_f64 v[54:55], v[24:25], s[4:5], v[54:55]
	v_fma_f64 v[177:178], v[24:25], s[22:23], -v[58:59]
	v_fma_f64 v[58:59], v[24:25], s[22:23], v[58:59]
	v_fma_f64 v[179:180], v[24:25], s[10:11], -v[26:27]
	v_fma_f64 v[24:25], v[24:25], s[10:11], v[26:27]
	v_add_f64_e32 v[44:45], v[185:186], v[44:45]
	v_add_f64_e32 v[16:17], v[163:164], v[16:17]
	;; [unrolled: 1-line block ×4, first 2 shown]
	v_mul_f64_e32 v[66:67], s[38:39], v[34:35]
	v_fma_f64 v[142:143], v[28:29], s[18:19], -v[62:63]
	v_fma_f64 v[62:63], v[28:29], s[18:19], v[62:63]
	v_add_f64_e32 v[0:1], v[241:242], v[0:1]
	v_fma_f64 v[163:164], v[28:29], s[12:13], -v[64:65]
	v_fma_f64 v[64:65], v[28:29], s[12:13], v[64:65]
	v_fma_f64 v[165:166], v[28:29], s[16:17], -v[129:130]
	v_add_f64_e32 v[6:7], v[18:19], v[6:7]
	v_add_f64_e32 v[8:9], v[140:141], v[8:9]
	;; [unrolled: 1-line block ×12, first 2 shown]
	v_mul_f64_e32 v[36:37], s[40:41], v[34:35]
	v_mul_f64_e32 v[42:43], s[24:25], v[34:35]
	v_fma_f64 v[161:162], v[28:29], s[10:11], -v[48:49]
	v_fma_f64 v[48:49], v[28:29], s[10:11], v[48:49]
	v_fma_f64 v[129:130], v[28:29], s[16:17], v[129:130]
	v_fma_f64 v[167:168], v[28:29], s[0:1], -v[131:132]
	v_fma_f64 v[131:132], v[28:29], s[0:1], v[131:132]
	v_fma_f64 v[181:182], v[28:29], s[22:23], -v[133:134]
	;; [unrolled: 2-line block ×4, first 2 shown]
	v_fma_f64 v[28:29], v[28:29], s[14:15], v[30:31]
	v_mul_f64_e32 v[60:61], s[30:31], v[34:35]
	v_mul_f64_e32 v[140:141], s[20:21], v[34:35]
	;; [unrolled: 1-line block ×3, first 2 shown]
	v_add_f64_e32 v[16:17], v[155:156], v[16:17]
	v_add_f64_e32 v[4:5], v[157:158], v[4:5]
	;; [unrolled: 1-line block ×3, first 2 shown]
	v_fma_f64 v[22:23], v[32:33], s[22:23], -v[66:67]
	v_add_f64_e32 v[0:1], v[237:238], v[0:1]
	v_add_f64_e32 v[6:7], v[24:25], v[6:7]
	;; [unrolled: 1-line block ×14, first 2 shown]
	v_fma_f64 v[24:25], v[32:33], s[22:23], v[66:67]
	v_fma_f64 v[50:51], v[32:33], s[0:1], -v[145:146]
	v_fma_f64 v[54:55], v[32:33], s[0:1], v[145:146]
	v_fma_f64 v[66:67], v[32:33], s[4:5], -v[36:37]
	;; [unrolled: 2-line block ×3, first 2 shown]
	v_fma_f64 v[56:57], v[32:33], s[18:19], -v[147:148]
	v_fma_f64 v[58:59], v[32:33], s[18:19], v[147:148]
	v_fma_f64 v[42:43], v[32:33], s[16:17], v[42:43]
	v_fma_f64 v[147:148], v[32:33], s[10:11], -v[60:61]
	v_fma_f64 v[60:61], v[32:33], s[10:11], v[60:61]
	v_fma_f64 v[149:150], v[32:33], s[14:15], -v[140:141]
	;; [unrolled: 2-line block ×3, first 2 shown]
	v_fma_f64 v[32:33], v[32:33], s[12:13], v[34:35]
	v_add_f64_e32 v[16:17], v[48:49], v[16:17]
	v_add_f64_e32 v[4:5], v[163:164], v[4:5]
	;; [unrolled: 1-line block ×21, first 2 shown]
	v_mad_u32_u24 v24, 0x88, v122, 0
	v_add_f64_e32 v[6:7], v[32:33], v[6:7]
	v_add_f64_e32 v[8:9], v[22:23], v[8:9]
	;; [unrolled: 1-line block ×14, first 2 shown]
	ds_store_2addr_b64 v24, v[20:21], v[26:27] offset0:4 offset1:5
	ds_store_2addr_b64 v24, v[28:29], v[34:35] offset0:6 offset1:7
	;; [unrolled: 1-line block ×6, first 2 shown]
	ds_store_2addr_b64 v24, v[0:1], v[8:9] offset1:1
	ds_store_2addr_b64 v24, v[12:13], v[4:5] offset0:2 offset1:3
	ds_store_b64 v24, v[2:3] offset:128
.LBB0_19:
	s_or_b32 exec_lo, exec_lo, s33
	v_add_nc_u32_e32 v129, 0x66, v154
	v_and_b32_e32 v0, 0xff, v154
	v_and_b32_e32 v1, 0xff, v122
	v_dual_mov_b32 v141, 0 :: v_dual_add_nc_u32 v130, 0x99, v154
	s_delay_alu instid0(VALU_DEP_4) | instskip(NEXT) | instid1(VALU_DEP_4)
	v_and_b32_e32 v24, 0xff, v129
	v_mul_lo_u16 v0, 0xf1, v0
	s_delay_alu instid0(VALU_DEP_4)
	v_mul_lo_u16 v1, 0xf1, v1
	v_add_nc_u32_e32 v60, 0xcc, v154
	v_add_nc_u32_e32 v61, 0xff, v154
	global_wb scope:SCOPE_SE
	s_wait_dscnt 0x0
	v_lshrrev_b16 v25, 12, v0
	v_lshrrev_b16 v26, 12, v1
	v_mul_lo_u16 v0, 0xf1, v24
	v_and_b32_e32 v1, 0xff, v130
	v_and_b32_e32 v5, 0xff, v60
	v_mul_lo_u16 v2, v25, 17
	v_mul_lo_u16 v3, v26, 17
	v_lshrrev_b16 v30, 12, v0
	v_mul_lo_u16 v0, 0xf1, v1
	s_barrier_signal -1
	v_sub_nc_u16 v1, v154, v2
	v_sub_nc_u16 v2, v122, v3
	v_mul_lo_u16 v3, v30, 17
	v_lshrrev_b16 v31, 12, v0
	s_barrier_wait -1
	v_and_b32_e32 v28, 0xff, v1
	v_and_b32_e32 v29, 0xff, v2
	v_sub_nc_u16 v0, v129, v3
	v_mul_lo_u16 v1, v31, 17
	global_inv scope:SCOPE_SE
	v_lshlrev_b32_e32 v2, 5, v28
	v_lshlrev_b32_e32 v4, 5, v29
	v_and_b32_e32 v27, 0xff, v0
	v_sub_nc_u16 v6, v130, v1
	s_clause 0x1
	global_load_b128 v[12:15], v2, s[8:9] offset:16
	global_load_b128 v[0:3], v2, s[8:9]
	v_mul_lo_u16 v16, 0xf1, v5
	v_lshlrev_b32_e32 v20, 5, v27
	v_and_b32_e32 v59, 0xff, v6
	s_clause 0x1
	global_load_b128 v[8:11], v4, s[8:9] offset:16
	global_load_b128 v[4:7], v4, s[8:9]
	v_add_nc_u32_e32 v52, 0x132, v154
	v_and_b32_e32 v32, 0xffff, v61
	v_add_nc_u32_e32 v53, 0x165, v154
	v_lshrrev_b16 v135, 12, v16
	s_clause 0x1
	global_load_b128 v[16:19], v20, s[8:9] offset:16
	global_load_b128 v[20:23], v20, s[8:9]
	v_add_nc_u32_e32 v54, 0x198, v154
	v_mul_u32_u24_e32 v40, 0xf0f1, v32
	v_and_b32_e32 v41, 0xffff, v52
	v_and_b32_e32 v43, 0xffff, v53
	v_mul_lo_u16 v42, v135, 17
	v_lshlrev_b32_e32 v36, 5, v59
	v_lshrrev_b32_e32 v153, 20, v40
	v_mul_u32_u24_e32 v41, 0xf0f1, v41
	v_and_b32_e32 v40, 0xffff, v54
	v_mul_u32_u24_e32 v43, 0xf0f1, v43
	v_sub_nc_u16 v42, v60, v42
	s_clause 0x1
	global_load_b128 v[32:35], v36, s[8:9] offset:16
	global_load_b128 v[36:39], v36, s[8:9]
	v_lshrrev_b32_e32 v215, 20, v41
	v_mul_lo_u16 v41, v153, 17
	v_mul_u32_u24_e32 v40, 0xf0f1, v40
	v_lshrrev_b32_e32 v216, 20, v43
	v_and_b32_e32 v219, 0xff, v42
	v_mul_lo_u16 v42, v215, 17
	v_sub_nc_u16 v41, v61, v41
	v_lshrrev_b32_e32 v217, 20, v40
	v_mul_lo_u16 v40, v216, 17
	v_lshlrev_b32_e32 v44, 5, v219
	v_sub_nc_u16 v45, v52, v42
	v_and_b32_e32 v220, 0xffff, v41
	v_mul_lo_u16 v48, v217, 17
	v_sub_nc_u16 v49, v53, v40
	global_load_b128 v[40:43], v44, s[8:9]
	v_and_b32_e32 v221, 0xffff, v45
	v_lshlrev_b32_e32 v55, 5, v220
	v_sub_nc_u16 v56, v54, v48
	v_and_b32_e32 v227, 0xffff, v49
	v_lshlrev_b32_e32 v140, 3, v154
	v_lshlrev_b32_e32 v66, 5, v221
	s_clause 0x1
	global_load_b128 v[48:51], v55, s[8:9]
	global_load_b128 v[44:47], v44, s[8:9] offset:16
	v_and_b32_e32 v228, 0xffff, v56
	global_load_b128 v[55:58], v55, s[8:9] offset:16
	v_lshlrev_b32_e32 v67, 5, v227
	s_clause 0x1
	global_load_b128 v[62:65], v66, s[8:9]
	global_load_b128 v[131:134], v66, s[8:9] offset:16
	v_and_b32_e32 v25, 0xffff, v25
	v_lshlrev_b32_e32 v66, 5, v228
	s_clause 0x3
	global_load_b128 v[145:148], v67, s[8:9]
	global_load_b128 v[149:152], v67, s[8:9] offset:16
	global_load_b128 v[155:158], v66, s[8:9]
	global_load_b128 v[159:162], v66, s[8:9] offset:16
	ds_load_2addr_b64 v[163:166], v144 offset1:51
	ds_load_2addr_b64 v[167:170], v124 offset0:152 offset1:203
	ds_load_2addr_b64 v[171:174], v123 offset0:150 offset1:201
	;; [unrolled: 1-line block ×11, first 2 shown]
	v_and_b32_e32 v26, 0xffff, v26
	v_lshlrev_b64_e32 v[142:143], 4, v[140:141]
	v_mul_u32_u24_e32 v140, 0x198, v25
	v_and_b32_e32 v222, 0xffff, v30
	v_and_b32_e32 v223, 0xffff, v31
	v_mul_u32_u24_e32 v218, 0x198, v26
	v_mul_u32_u24_e32 v231, 0x198, v217
	v_lshlrev_b32_e32 v217, 3, v28
	v_lshlrev_b32_e32 v224, 3, v29
	v_mul_u32_u24_e32 v229, 0x198, v215
	v_mul_u32_u24_e32 v230, 0x198, v216
	ds_load_2addr_b64 v[211:214], v123 offset0:48 offset1:99
	ds_load_b64 v[66:67], v144 offset:10608
	v_add3_u32 v140, 0, v140, v217
	v_add3_u32 v233, 0, v218, v224
	v_mul_u32_u24_e32 v222, 0x198, v222
	v_lshlrev_b32_e32 v27, 3, v27
	v_mul_u32_u24_e32 v232, 0x198, v223
	v_lshlrev_b32_e32 v234, 3, v219
	v_lshlrev_b32_e32 v235, 3, v220
	;; [unrolled: 1-line block ×3, first 2 shown]
	v_add3_u32 v237, 0, v222, v27
	s_mov_b32 s4, 0xe8584caa
	s_mov_b32 s5, 0xbfebb67a
	;; [unrolled: 1-line block ×3, first 2 shown]
	s_wait_alu 0xfffe
	s_mov_b32 s10, s4
	v_and_b32_e32 v135, 0xffff, v135
	v_add_co_u32 v142, s0, s8, v142
	s_wait_alu 0xf1ff
	v_add_co_ci_u32_e64 v143, s0, s9, v143, s0
	v_mul_u32_u24_e32 v153, 0x198, v153
	v_mul_u32_u24_e32 v135, 0x198, v135
	v_lshlrev_b32_e32 v59, 3, v59
	global_wb scope:SCOPE_SE
	s_wait_loadcnt_dscnt 0x0
	s_barrier_signal -1
	s_barrier_wait -1
	global_inv scope:SCOPE_SE
	v_add3_u32 v59, 0, v232, v59
	v_add3_u32 v135, 0, v135, v234
	v_add3_u32 v153, 0, v153, v235
	s_mov_b32 s26, 0x523c161c
	s_mov_b32 s16, 0x8c811c17
	;; [unrolled: 1-line block ×5, first 2 shown]
	s_wait_alu 0xfffe
	s_mov_b32 s22, s26
	s_mov_b32 s24, 0xa2cf5039
	;; [unrolled: 1-line block ×7, first 2 shown]
	s_wait_alu 0xfffe
	s_mov_b32 s20, s0
	s_mov_b32 s21, s5
	;; [unrolled: 1-line block ×6, first 2 shown]
	v_mul_f64_e32 v[25:26], v[171:172], v[14:15]
	v_mul_f64_e32 v[14:15], v[116:117], v[14:15]
	;; [unrolled: 1-line block ×18, first 2 shown]
	v_fma_f64 v[25:26], v[116:117], v[12:13], v[25:26]
	v_fma_f64 v[12:13], v[171:172], v[12:13], -v[14:15]
	v_fma_f64 v[82:83], v[82:83], v[0:1], v[217:218]
	v_fma_f64 v[30:31], v[118:119], v[8:9], v[30:31]
	v_fma_f64 v[8:9], v[173:174], v[8:9], -v[10:11]
	v_mul_f64_e32 v[116:117], v[199:200], v[50:51]
	v_mul_f64_e32 v[14:15], v[195:196], v[46:47]
	;; [unrolled: 1-line block ×8, first 2 shown]
	v_fma_f64 v[27:28], v[114:115], v[20:21], v[28:29]
	v_fma_f64 v[20:21], v[177:178], v[20:21], -v[22:23]
	v_mul_f64_e32 v[22:23], v[98:99], v[64:65]
	v_mul_f64_e32 v[64:65], v[92:93], v[133:134]
	v_fma_f64 v[112:113], v[112:113], v[4:5], v[215:216]
	v_fma_f64 v[4:5], v[175:176], v[4:5], -v[6:7]
	v_mul_f64_e32 v[6:7], v[211:212], v[147:148]
	v_mul_f64_e32 v[173:174], v[209:210], v[151:152]
	;; [unrolled: 1-line block ×6, first 2 shown]
	v_fma_f64 v[0:1], v[169:170], v[0:1], -v[2:3]
	v_mul_f64_e32 v[2:3], v[90:91], v[157:158]
	v_mul_f64_e32 v[151:152], v[120:121], v[161:162]
	v_fma_f64 v[108:109], v[108:109], v[16:17], v[219:220]
	v_fma_f64 v[16:17], v[183:184], v[16:17], -v[18:19]
	v_fma_f64 v[18:19], v[104:105], v[36:37], v[221:222]
	v_fma_f64 v[36:37], v[187:188], v[36:37], -v[38:39]
	;; [unrolled: 2-line block ×3, first 2 shown]
	v_lshlrev_b32_e32 v157, 3, v228
	v_lshlrev_b32_e32 v29, 3, v227
	v_fma_f64 v[34:35], v[106:107], v[40:41], v[225:226]
	v_fma_f64 v[40:41], v[189:190], v[40:41], -v[42:43]
	v_add3_u32 v215, 0, v229, v236
	v_add3_u32 v217, 0, v231, v157
	v_add3_u32 v216, 0, v230, v29
	v_fma_f64 v[42:43], v[96:97], v[48:49], v[116:117]
	v_fma_f64 v[14:15], v[100:101], v[44:45], v[14:15]
	v_fma_f64 v[44:45], v[195:196], v[44:45], -v[46:47]
	v_fma_f64 v[10:11], v[102:103], v[55:56], v[10:11]
	v_fma_f64 v[46:47], v[199:200], v[48:49], -v[50:51]
	v_fma_f64 v[48:49], v[197:198], v[55:56], -v[57:58]
	v_fma_f64 v[96:97], v[98:99], v[62:63], v[118:119]
	v_fma_f64 v[92:93], v[92:93], v[131:132], v[171:172]
	v_fma_f64 v[22:23], v[201:202], v[62:63], -v[22:23]
	v_fma_f64 v[50:51], v[207:208], v[131:132], -v[64:65]
	v_add_f64_e32 v[104:105], v[112:113], v[30:31]
	v_add_f64_e64 v[106:107], v[4:5], -v[8:9]
	v_fma_f64 v[6:7], v[88:89], v[145:146], v[6:7]
	v_fma_f64 v[88:89], v[94:95], v[149:150], v[173:174]
	;; [unrolled: 1-line block ×4, first 2 shown]
	v_fma_f64 v[55:56], v[211:212], v[145:146], -v[133:134]
	v_fma_f64 v[57:58], v[209:210], v[149:150], -v[147:148]
	v_add_f64_e64 v[98:99], v[0:1], -v[12:13]
	v_fma_f64 v[2:3], v[213:214], v[155:156], -v[2:3]
	v_fma_f64 v[62:63], v[66:67], v[159:160], -v[151:152]
	v_add_f64_e32 v[66:67], v[82:83], v[25:26]
	v_add_f64_e32 v[100:101], v[163:164], v[0:1]
	v_add_f64_e32 v[0:1], v[0:1], v[12:13]
	v_add_f64_e32 v[110:111], v[165:166], v[4:5]
	v_add_f64_e32 v[4:5], v[4:5], v[8:9]
	v_add_f64_e32 v[131:132], v[18:19], v[38:39]
	v_add_f64_e32 v[116:117], v[27:28], v[108:109]
	v_add_f64_e64 v[118:119], v[20:21], -v[16:17]
	v_add_f64_e32 v[120:121], v[179:180], v[20:21]
	v_add_f64_e32 v[20:21], v[20:21], v[16:17]
	;; [unrolled: 1-line block ×4, first 2 shown]
	v_add_f64_e64 v[147:148], v[36:37], -v[32:33]
	v_add_f64_e32 v[151:152], v[181:182], v[36:37]
	v_add_f64_e32 v[36:37], v[36:37], v[32:33]
	;; [unrolled: 1-line block ×4, first 2 shown]
	v_add_f64_e64 v[169:170], v[40:41], -v[44:45]
	v_add_f64_e32 v[149:150], v[42:43], v[10:11]
	v_add_f64_e32 v[40:41], v[40:41], v[44:45]
	v_add_f64_e64 v[175:176], v[46:47], -v[48:49]
	v_add_f64_e32 v[177:178], v[193:194], v[46:47]
	v_add_f64_e32 v[46:47], v[46:47], v[48:49]
	;; [unrolled: 1-line block ×5, first 2 shown]
	v_add_f64_e64 v[185:186], v[22:23], -v[50:51]
	v_add_f64_e32 v[22:23], v[22:23], v[50:51]
	v_add_f64_e64 v[82:83], v[82:83], -v[25:26]
	v_add_f64_e32 v[114:115], v[68:69], v[27:28]
	v_add_f64_e32 v[157:158], v[6:7], v[88:89]
	v_add_f64_e64 v[112:113], v[112:113], -v[30:31]
	v_add_f64_e32 v[159:160], v[90:91], v[94:95]
	v_add_f64_e32 v[133:134], v[70:71], v[18:19]
	;; [unrolled: 1-line block ×3, first 2 shown]
	v_add_f64_e64 v[27:28], v[27:28], -v[108:109]
	v_add_f64_e64 v[18:19], v[18:19], -v[38:39]
	v_add_f64_e32 v[199:200], v[2:3], v[62:63]
	v_fma_f64 v[66:67], v[66:67], -0.5, v[72:73]
	v_fma_f64 v[72:73], v[104:105], -0.5, v[74:75]
	;; [unrolled: 1-line block ×3, first 2 shown]
	v_add_f64_e32 v[173:174], v[78:79], v[42:43]
	v_fma_f64 v[4:5], v[4:5], -0.5, v[165:166]
	v_fma_f64 v[70:71], v[131:132], -0.5, v[70:71]
	;; [unrolled: 1-line block ×3, first 2 shown]
	v_add_f64_e32 v[161:162], v[76:77], v[34:35]
	v_add_f64_e64 v[34:35], v[34:35], -v[14:15]
	v_fma_f64 v[20:21], v[20:21], -0.5, v[179:180]
	v_add_f64_e32 v[25:26], v[64:65], v[25:26]
	v_add_f64_e32 v[29:30], v[102:103], v[30:31]
	v_add_f64_e64 v[42:43], v[42:43], -v[10:11]
	v_add_f64_e64 v[96:97], v[96:97], -v[92:93]
	v_add_f64_e32 v[189:190], v[86:87], v[6:7]
	v_add_f64_e64 v[195:196], v[55:56], -v[57:58]
	v_fma_f64 v[76:77], v[145:146], -0.5, v[76:77]
	v_add_f64_e32 v[55:56], v[205:206], v[55:56]
	v_fma_f64 v[64:65], v[149:150], -0.5, v[78:79]
	v_add_f64_e32 v[78:79], v[100:101], v[12:13]
	v_add_f64_e32 v[100:101], v[151:152], v[32:33]
	v_fma_f64 v[31:32], v[36:37], -0.5, v[181:182]
	v_fma_f64 v[36:37], v[40:41], -0.5, v[191:192]
	;; [unrolled: 1-line block ×4, first 2 shown]
	v_add_f64_e32 v[201:202], v[80:81], v[90:91]
	v_add_f64_e64 v[6:7], v[6:7], -v[88:89]
	v_fma_f64 v[22:23], v[22:23], -0.5, v[203:204]
	v_add_f64_e64 v[74:75], v[2:3], -v[62:63]
	v_add_f64_e32 v[2:3], v[167:168], v[2:3]
	v_fma_f64 v[84:85], v[157:158], -0.5, v[86:87]
	v_add_f64_e64 v[90:91], v[90:91], -v[94:95]
	v_fma_f64 v[80:81], v[159:160], -0.5, v[80:81]
	v_add_f64_e32 v[102:103], v[171:172], v[44:45]
	v_fma_f64 v[46:47], v[197:198], -0.5, v[205:206]
	v_add_f64_e32 v[44:45], v[183:184], v[92:93]
	v_add_f64_e32 v[86:87], v[114:115], v[108:109]
	v_fma_f64 v[92:93], v[199:200], -0.5, v[167:168]
	v_fma_f64 v[108:109], v[98:99], s[4:5], v[66:67]
	v_fma_f64 v[66:67], v[98:99], s[10:11], v[66:67]
	;; [unrolled: 1-line block ×4, first 2 shown]
	v_add_f64_e32 v[8:9], v[110:111], v[8:9]
	v_fma_f64 v[98:99], v[106:107], s[4:5], v[72:73]
	v_fma_f64 v[110:111], v[147:148], s[4:5], v[70:71]
	;; [unrolled: 1-line block ×6, first 2 shown]
	v_add_f64_e32 v[16:17], v[120:121], v[16:17]
	v_fma_f64 v[106:107], v[118:119], s[4:5], v[68:69]
	v_fma_f64 v[149:150], v[27:28], s[10:11], v[20:21]
	;; [unrolled: 1-line block ×4, first 2 shown]
	v_add_f64_e32 v[38:39], v[133:134], v[38:39]
	v_add_f64_e32 v[14:15], v[161:162], v[14:15]
	v_fma_f64 v[114:115], v[169:170], s[4:5], v[76:77]
	v_fma_f64 v[76:77], v[169:170], s[10:11], v[76:77]
	v_add_f64_e32 v[10:11], v[173:174], v[10:11]
	v_fma_f64 v[155:156], v[18:19], s[10:11], v[31:32]
	v_fma_f64 v[157:158], v[18:19], s[4:5], v[31:32]
	v_fma_f64 v[159:160], v[34:35], s[10:11], v[36:37]
	v_fma_f64 v[161:162], v[34:35], s[4:5], v[36:37]
	v_add_f64_e32 v[104:105], v[177:178], v[48:49]
	v_fma_f64 v[116:117], v[175:176], s[4:5], v[64:65]
	v_fma_f64 v[163:164], v[42:43], s[10:11], v[40:41]
	;; [unrolled: 5-line block ×4, first 2 shown]
	v_fma_f64 v[74:75], v[74:75], s[10:11], v[80:81]
	v_add_f64_e32 v[80:81], v[55:56], v[57:58]
	v_fma_f64 v[169:170], v[6:7], s[10:11], v[46:47]
	v_fma_f64 v[84:85], v[195:196], s[10:11], v[84:85]
	;; [unrolled: 1-line block ×3, first 2 shown]
	v_add_f64_e32 v[94:95], v[201:202], v[94:95]
	v_add_f64_e32 v[133:134], v[2:3], v[62:63]
	v_fma_f64 v[173:174], v[90:91], s[10:11], v[92:93]
	v_fma_f64 v[90:91], v[90:91], s[4:5], v[92:93]
	ds_store_2addr_b64 v140, v[25:26], v[108:109] offset1:17
	ds_store_b64 v140, v[66:67] offset:272
	ds_store_2addr_b64 v233, v[29:30], v[98:99] offset1:17
	ds_store_b64 v233, v[72:73] offset:272
	;; [unrolled: 2-line block ×9, first 2 shown]
	global_wb scope:SCOPE_SE
	s_wait_dscnt 0x0
	s_barrier_signal -1
	s_barrier_wait -1
	global_inv scope:SCOPE_SE
	ds_load_2addr_b64 v[4:7], v144 offset1:51
	ds_load_2addr_b64 v[0:3], v144 offset0:102 offset1:153
	ds_load_2addr_b64 v[12:15], v124 offset0:50 offset1:101
	ds_load_2addr_b64 v[19:22], v124 offset0:152 offset1:203
	ds_load_2addr_b64 v[25:28], v126 offset0:100 offset1:151
	ds_load_2addr_b64 v[29:32], v126 offset0:202 offset1:253
	ds_load_2addr_b64 v[33:36], v123 offset0:150 offset1:201
	ds_load_2addr_b64 v[37:40], v128 offset0:124 offset1:175
	ds_load_2addr_b64 v[41:44], v127 offset0:200 offset1:251
	ds_load_2addr_b64 v[45:48], v144 offset0:204 offset1:255
	ds_load_2addr_b64 v[55:58], v125 offset0:126 offset1:177
	ds_load_2addr_b64 v[62:65], v123 offset0:48 offset1:99
	ds_load_2addr_b64 v[66:69], v127 offset0:98 offset1:149
	ds_load_b64 v[199:200], v144 offset:10608
	global_wb scope:SCOPE_SE
	s_wait_dscnt 0x0
	s_barrier_signal -1
	s_barrier_wait -1
	global_inv scope:SCOPE_SE
	ds_store_2addr_b64 v140, v[78:79], v[145:146] offset1:17
	ds_store_b64 v140, v[82:83] offset:272
	ds_store_2addr_b64 v233, v[8:9], v[147:148] offset1:17
	ds_store_b64 v233, v[112:113] offset:272
	;; [unrolled: 2-line block ×9, first 2 shown]
	global_wb scope:SCOPE_SE
	s_wait_dscnt 0x0
	s_barrier_signal -1
	s_barrier_wait -1
	global_inv scope:SCOPE_SE
	s_clause 0x7
	global_load_b128 v[70:73], v[142:143], off offset:560
	global_load_b128 v[74:77], v[142:143], off offset:592
	;; [unrolled: 1-line block ×8, first 2 shown]
	v_mul_lo_u16 v8, 0xa1, v24
	s_delay_alu instid0(VALU_DEP_1) | instskip(NEXT) | instid1(VALU_DEP_1)
	v_lshrrev_b16 v8, 13, v8
	v_mul_lo_u16 v8, v8, 51
	s_delay_alu instid0(VALU_DEP_1) | instskip(NEXT) | instid1(VALU_DEP_1)
	v_sub_nc_u16 v8, v129, v8
	v_and_b32_e32 v18, 0xff, v8
	s_delay_alu instid0(VALU_DEP_1)
	v_lshlrev_b32_e32 v8, 7, v18
	s_clause 0x7
	global_load_b128 v[102:105], v8, s[8:9] offset:544
	global_load_b128 v[106:109], v8, s[8:9] offset:560
	;; [unrolled: 1-line block ×8, first 2 shown]
	ds_load_2addr_b64 v[155:158], v124 offset0:50 offset1:101
	ds_load_2addr_b64 v[159:162], v126 offset0:100 offset1:151
	;; [unrolled: 1-line block ×12, first 2 shown]
	ds_load_b64 v[142:143], v144 offset:10608
	v_lshl_add_u32 v59, v18, 3, 0
	s_delay_alu instid0(VALU_DEP_1)
	v_add_nc_u32_e32 v135, 0x1800, v59
	v_add_nc_u32_e32 v140, 0x1c00, v59
	;; [unrolled: 1-line block ×3, first 2 shown]
	s_wait_loadcnt_dscnt 0xe0b
	v_mul_f64_e32 v[201:202], v[159:160], v[76:77]
	v_mul_f64_e32 v[16:17], v[155:156], v[72:73]
	;; [unrolled: 1-line block ×4, first 2 shown]
	s_wait_loadcnt_dscnt 0xd0a
	v_mul_f64_e32 v[205:206], v[10:11], v[80:81]
	v_mul_f64_e32 v[207:208], v[2:3], v[80:81]
	;; [unrolled: 1-line block ×4, first 2 shown]
	s_wait_loadcnt_dscnt 0xb08
	v_mul_f64_e32 v[215:216], v[169:170], v[88:89]
	v_mul_f64_e32 v[217:218], v[31:32], v[88:89]
	s_wait_loadcnt_dscnt 0x905
	v_mul_f64_e32 v[223:224], v[179:180], v[96:97]
	s_wait_loadcnt 0x8
	v_mul_f64_e32 v[225:226], v[177:178], v[100:101]
	v_mul_f64_e32 v[227:228], v[41:42], v[96:97]
	s_wait_dscnt 0x4
	v_mul_f64_e32 v[231:232], v[183:184], v[80:81]
	v_mul_f64_e32 v[80:81], v[45:46], v[80:81]
	;; [unrolled: 1-line block ×6, first 2 shown]
	s_wait_dscnt 0x3
	v_mul_f64_e32 v[233:234], v[187:188], v[84:85]
	v_mul_f64_e32 v[84:85], v[55:56], v[84:85]
	;; [unrolled: 1-line block ×5, first 2 shown]
	s_wait_dscnt 0x2
	v_mul_f64_e32 v[235:236], v[191:192], v[88:89]
	v_mul_f64_e32 v[88:89], v[62:63], v[88:89]
	s_wait_dscnt 0x1
	v_mul_f64_e32 v[239:240], v[195:196], v[100:101]
	v_mul_f64_e32 v[100:101], v[66:67], v[100:101]
	;; [unrolled: 1-line block ×6, first 2 shown]
	s_wait_loadcnt 0x7
	v_mul_f64_e32 v[245:246], v[185:186], v[104:105]
	v_mul_f64_e32 v[104:105], v[47:48], v[104:105]
	v_fma_f64 v[25:26], v[25:26], v[74:75], v[201:202]
	v_fma_f64 v[243:244], v[12:13], v[70:71], v[16:17]
	v_fma_f64 v[49:50], v[155:156], v[70:71], -v[49:50]
	s_wait_loadcnt 0x5
	v_mul_f64_e32 v[155:156], v[189:190], v[112:113]
	v_mul_f64_e32 v[112:113], v[57:58], v[112:113]
	v_fma_f64 v[27:28], v[27:28], v[74:75], v[203:204]
	v_fma_f64 v[159:160], v[159:160], v[74:75], -v[209:210]
	v_fma_f64 v[74:75], v[161:162], v[74:75], -v[76:77]
	s_wait_loadcnt 0x3
	v_mul_f64_e32 v[76:77], v[193:194], v[120:121]
	v_fma_f64 v[205:206], v[2:3], v[78:79], v[205:206]
	v_fma_f64 v[207:208], v[10:11], v[78:79], -v[207:208]
	v_fma_f64 v[41:42], v[41:42], v[94:95], v[223:224]
	v_fma_f64 v[39:40], v[39:40], v[98:99], v[225:226]
	v_fma_f64 v[179:180], v[179:180], v[94:95], -v[227:228]
	v_fma_f64 v[16:17], v[31:32], v[86:87], v[215:216]
	v_fma_f64 v[31:32], v[45:46], v[78:79], v[231:232]
	v_fma_f64 v[45:46], v[183:184], v[78:79], -v[80:81]
	s_wait_loadcnt 0x0
	v_mul_f64_e32 v[80:81], v[199:200], v[151:152]
	v_fma_f64 v[2:3], v[169:170], v[86:87], -v[217:218]
	v_fma_f64 v[23:24], v[14:15], v[70:71], v[23:24]
	v_fma_f64 v[70:71], v[157:158], v[70:71], -v[72:73]
	v_mul_f64_e32 v[72:73], v[163:164], v[108:109]
	v_mul_f64_e32 v[108:109], v[19:20], v[108:109]
	;; [unrolled: 1-line block ×6, first 2 shown]
	v_fma_f64 v[21:22], v[21:22], v[82:83], v[211:212]
	v_fma_f64 v[147:148], v[165:166], v[82:83], -v[213:214]
	v_fma_f64 v[55:56], v[55:56], v[82:83], v[233:234]
	v_fma_f64 v[82:83], v[187:188], v[82:83], -v[84:85]
	v_mul_f64_e32 v[84:85], v[64:65], v[120:121]
	s_wait_dscnt 0x0
	v_mul_f64_e32 v[203:204], v[142:143], v[151:152]
	v_fma_f64 v[177:178], v[177:178], v[98:99], -v[229:230]
	v_mul_f64_e32 v[161:162], v[175:176], v[133:134]
	v_mul_f64_e32 v[120:121], v[37:38], v[133:134]
	v_fma_f64 v[33:34], v[33:34], v[90:91], v[219:220]
	v_fma_f64 v[133:134], v[171:172], v[90:91], -v[221:222]
	v_fma_f64 v[62:63], v[62:63], v[86:87], v[235:236]
	v_fma_f64 v[14:15], v[191:192], v[86:87], -v[88:89]
	;; [unrolled: 2-line block ×5, first 2 shown]
	v_fma_f64 v[64:65], v[64:65], v[118:119], v[76:77]
	v_fma_f64 v[35:36], v[35:36], v[90:91], v[237:238]
	v_fma_f64 v[90:91], v[173:174], v[90:91], -v[92:93]
	v_add_f64_e32 v[98:99], v[205:206], v[41:42]
	v_add_f64_e32 v[100:101], v[243:244], v[39:40]
	v_add_f64_e64 v[41:42], v[205:206], -v[41:42]
	v_fma_f64 v[92:93], v[185:186], v[102:103], -v[104:105]
	v_fma_f64 v[47:48], v[47:48], v[102:103], v[245:246]
	v_add_f64_e32 v[102:103], v[207:208], v[179:180]
	v_fma_f64 v[76:77], v[142:143], v[149:150], -v[80:81]
	v_add_f64_e64 v[80:81], v[207:208], -v[179:180]
	v_add_f64_e64 v[110:111], v[159:160], -v[2:3]
	;; [unrolled: 1-line block ×3, first 2 shown]
	v_fma_f64 v[19:20], v[19:20], v[106:107], v[72:73]
	v_fma_f64 v[72:73], v[163:164], v[106:107], -v[108:109]
	v_add_f64_e64 v[108:109], v[25:26], -v[16:17]
	v_fma_f64 v[96:97], v[167:168], v[114:115], -v[116:117]
	v_fma_f64 v[68:69], v[68:69], v[145:146], v[201:202]
	v_fma_f64 v[78:79], v[197:198], v[145:146], -v[78:79]
	v_fma_f64 v[29:30], v[29:30], v[114:115], v[157:158]
	ds_load_2addr_b64 v[10:13], v144 offset1:51
	global_wb scope:SCOPE_SE
	s_wait_dscnt 0x0
	s_barrier_signal -1
	v_fma_f64 v[84:85], v[193:194], v[118:119], -v[84:85]
	v_fma_f64 v[106:107], v[199:200], v[149:150], v[203:204]
	v_add_f64_e32 v[104:105], v[49:50], v[177:178]
	v_fma_f64 v[37:38], v[37:38], v[131:132], v[161:162]
	v_fma_f64 v[112:113], v[175:176], v[131:132], -v[120:121]
	v_add_f64_e32 v[114:115], v[21:22], v[33:34]
	v_add_f64_e32 v[116:117], v[147:148], v[133:134]
	v_add_f64_e64 v[49:50], v[49:50], -v[177:178]
	v_add_f64_e64 v[21:22], v[21:22], -v[33:34]
	v_add_f64_e64 v[33:34], v[147:148], -v[133:134]
	v_add_f64_e32 v[118:119], v[25:26], v[16:17]
	v_add_f64_e32 v[131:132], v[31:32], v[43:44]
	;; [unrolled: 1-line block ×3, first 2 shown]
	v_add_f64_e64 v[31:32], v[31:32], -v[43:44]
	v_add_f64_e64 v[43:44], v[45:46], -v[86:87]
	v_add_f64_e32 v[142:143], v[23:24], v[66:67]
	v_add_f64_e32 v[145:146], v[70:71], v[88:89]
	;; [unrolled: 1-line block ×5, first 2 shown]
	v_add_f64_e64 v[45:46], v[70:71], -v[88:89]
	v_add_f64_e64 v[35:36], v[55:56], -v[35:36]
	;; [unrolled: 1-line block ×4, first 2 shown]
	v_add_f64_e32 v[82:83], v[27:28], v[62:63]
	v_mul_f64_e32 v[171:172], s[26:27], v[80:81]
	v_mul_f64_e32 v[173:174], s[22:23], v[110:111]
	;; [unrolled: 1-line block ×3, first 2 shown]
	v_add_f64_e32 v[120:121], v[159:160], v[2:3]
	v_mul_f64_e32 v[155:156], s[26:27], v[41:42]
	v_mul_f64_e32 v[157:158], s[22:23], v[108:109]
	;; [unrolled: 1-line block ×3, first 2 shown]
	v_add_f64_e32 v[163:164], v[92:93], v[76:77]
	v_add_f64_e32 v[165:166], v[19:20], v[68:69]
	;; [unrolled: 1-line block ×3, first 2 shown]
	v_add_f64_e64 v[76:77], v[92:93], -v[76:77]
	v_add_f64_e64 v[19:20], v[19:20], -v[68:69]
	;; [unrolled: 1-line block ×4, first 2 shown]
	v_add_f64_e32 v[92:93], v[29:30], v[64:65]
	v_add_f64_e32 v[151:152], v[47:48], v[106:107]
	;; [unrolled: 1-line block ×3, first 2 shown]
	v_add_f64_e64 v[23:24], v[23:24], -v[66:67]
	v_add_f64_e64 v[66:67], v[27:28], -v[62:63]
	v_add_f64_e32 v[88:89], v[74:75], v[14:15]
	v_add_f64_e32 v[169:170], v[57:58], v[37:38]
	;; [unrolled: 1-line block ×3, first 2 shown]
	v_add_f64_e64 v[47:48], v[47:48], -v[106:107]
	v_add_f64_e64 v[37:38], v[57:58], -v[37:38]
	;; [unrolled: 1-line block ×4, first 2 shown]
	v_add_f64_e32 v[94:95], v[96:97], v[84:85]
	v_fma_f64 v[106:107], v[98:99], s[24:25], v[4:5]
	v_fma_f64 v[179:180], v[118:119], s[24:25], v[4:5]
	;; [unrolled: 1-line block ×3, first 2 shown]
	v_mul_f64_e32 v[197:198], s[26:27], v[43:44]
	v_fma_f64 v[199:200], v[131:132], s[24:25], v[6:7]
	v_add_f64_e32 v[201:202], v[118:119], v[86:87]
	v_add_f64_e32 v[86:87], v[114:115], v[86:87]
	v_fma_f64 v[229:230], v[142:143], s[24:25], v[6:7]
	v_fma_f64 v[112:113], v[102:103], s[24:25], v[10:11]
	v_mul_f64_e32 v[209:210], s[22:23], v[70:71]
	v_fma_f64 v[211:212], v[82:83], s[24:25], v[6:7]
	v_fma_f64 v[171:172], v[49:50], s[16:17], v[171:172]
	;; [unrolled: 1-line block ×3, first 2 shown]
	v_fma_f64 v[175:176], v[49:50], s[22:23], -v[175:176]
	v_mul_f64_e32 v[225:226], s[16:17], v[70:71]
	v_fma_f64 v[181:182], v[120:121], s[24:25], v[10:11]
	v_fma_f64 v[193:194], v[104:105], s[24:25], v[10:11]
	;; [unrolled: 1-line block ×4, first 2 shown]
	v_fma_f64 v[161:162], v[39:40], s[22:23], -v[161:162]
	v_fma_f64 v[253:254], v[165:166], s[24:25], v[0:1]
	v_mul_f64_e32 v[235:236], s[26:27], v[76:77]
	v_mul_f64_e32 v[195:196], s[26:27], v[31:32]
	v_fma_f64 v[203:204], v[133:134], s[24:25], v[12:13]
	v_mul_f64_e32 v[241:242], s[22:23], v[78:79]
	v_mul_f64_e32 v[243:244], s[16:17], v[78:79]
	v_fma_f64 v[247:248], v[92:93], s[24:25], v[0:1]
	v_fma_f64 v[237:238], v[151:152], s[24:25], v[0:1]
	v_add_f64_e32 v[205:206], v[120:121], v[90:91]
	v_add_f64_e32 v[90:91], v[116:117], v[90:91]
	v_mul_f64_e32 v[207:208], s[22:23], v[66:67]
	v_fma_f64 v[213:214], v[88:89], s[24:25], v[12:13]
	v_add_f64_e32 v[221:222], v[142:143], v[131:132]
	v_mul_f64_e32 v[227:228], s[16:17], v[66:67]
	v_fma_f64 v[231:232], v[145:146], s[24:25], v[12:13]
	v_mul_f64_e32 v[233:234], s[26:27], v[47:48]
	v_fma_f64 v[239:240], v[163:164], s[24:25], v[8:9]
	;; [unrolled: 2-line block ×3, first 2 shown]
	v_fma_f64 v[106:107], v[100:101], s[18:19], v[106:107]
	v_fma_f64 v[179:180], v[98:99], s[18:19], v[179:180]
	;; [unrolled: 1-line block ×5, first 2 shown]
	v_add_f64_e32 v[25:26], v[25:26], v[86:87]
	v_fma_f64 v[86:87], v[167:168], s[24:25], v[8:9]
	v_fma_f64 v[229:230], v[82:83], s[18:19], v[229:230]
	;; [unrolled: 1-line block ×5, first 2 shown]
	s_wait_alu 0xfffe
	v_fma_f64 v[173:174], v[33:34], s[20:21], v[173:174]
	v_fma_f64 v[33:34], v[33:34], s[0:1], v[175:176]
	v_mul_f64_e32 v[175:176], s[16:17], v[72:73]
	v_fma_f64 v[225:226], v[45:46], s[22:23], -v[225:226]
	v_fma_f64 v[112:113], v[104:105], s[18:19], v[112:113]
	v_fma_f64 v[155:156], v[21:22], s[0:1], v[155:156]
	;; [unrolled: 1-line block ×4, first 2 shown]
	v_add_f64_e32 v[161:162], v[165:166], v[151:152]
	v_fma_f64 v[181:182], v[102:103], s[18:19], v[181:182]
	v_fma_f64 v[193:194], v[120:121], s[18:19], v[193:194]
	;; [unrolled: 1-line block ×4, first 2 shown]
	v_fma_f64 v[243:244], v[68:69], s[22:23], -v[243:244]
	v_fma_f64 v[253:254], v[92:93], s[18:19], v[253:254]
	v_add_f64_e32 v[187:188], v[4:5], v[114:115]
	v_add_f64_e32 v[189:190], v[10:11], v[116:117]
	v_fma_f64 v[247:248], v[151:152], s[18:19], v[247:248]
	v_fma_f64 v[237:238], v[165:166], s[18:19], v[237:238]
	v_add_f64_e32 v[223:224], v[145:146], v[133:134]
	v_add_f64_e32 v[90:91], v[159:160], v[90:91]
	;; [unrolled: 1-line block ×3, first 2 shown]
	v_fma_f64 v[195:196], v[23:24], s[16:17], v[195:196]
	v_fma_f64 v[203:204], v[145:146], s[18:19], v[203:204]
	;; [unrolled: 1-line block ×4, first 2 shown]
	v_fma_f64 v[227:228], v[23:24], s[22:23], -v[227:228]
	v_fma_f64 v[106:107], v[114:115], -0.5, v[106:107]
	v_fma_f64 v[179:180], v[114:115], -0.5, v[179:180]
	;; [unrolled: 1-line block ×3, first 2 shown]
	v_add_f64_e32 v[191:192], v[82:83], v[221:222]
	v_add_f64_e32 v[221:222], v[147:148], v[221:222]
	v_fma_f64 v[231:232], v[88:89], s[18:19], v[231:232]
	v_fma_f64 v[233:234], v[19:20], s[16:17], v[233:234]
	v_fma_f64 v[239:240], v[167:168], s[18:19], v[239:240]
	v_fma_f64 v[245:246], v[47:48], s[16:17], v[245:246]
	v_fma_f64 v[249:250], v[163:164], s[18:19], v[249:250]
	v_fma_f64 v[86:87], v[94:95], s[18:19], v[86:87]
	v_add_f64_e32 v[185:186], v[110:111], v[80:81]
	v_add_f64_e32 v[217:218], v[70:71], v[43:44]
	v_fma_f64 v[175:176], v[19:20], s[22:23], -v[175:176]
	v_add_f64_e32 v[219:220], v[6:7], v[147:148]
	v_fma_f64 v[197:198], v[55:56], s[0:1], v[197:198]
	v_fma_f64 v[209:210], v[55:56], s[20:21], v[209:210]
	;; [unrolled: 1-line block ×3, first 2 shown]
	v_fma_f64 v[199:200], v[147:148], -0.5, v[199:200]
	v_fma_f64 v[211:212], v[147:148], -0.5, v[211:212]
	v_fma_f64 v[147:148], v[147:148], -0.5, v[229:230]
	v_fma_f64 v[112:113], v[116:117], -0.5, v[112:113]
	v_fma_f64 v[181:182], v[116:117], -0.5, v[181:182]
	v_fma_f64 v[116:117], v[116:117], -0.5, v[193:194]
	v_add_f64_e32 v[193:194], v[92:93], v[161:162]
	v_add_f64_e32 v[161:162], v[169:170], v[161:162]
	v_fma_f64 v[235:236], v[57:58], s[0:1], v[235:236]
	v_fma_f64 v[241:242], v[57:58], s[20:21], v[241:242]
	;; [unrolled: 1-line block ×3, first 2 shown]
	v_fma_f64 v[253:254], v[169:170], -0.5, v[253:254]
	v_fma_f64 v[187:188], v[201:202], -0.5, v[187:188]
	v_add_f64_e32 v[201:202], v[78:79], v[76:77]
	v_fma_f64 v[189:190], v[205:206], -0.5, v[189:190]
	v_add_f64_e32 v[205:206], v[0:1], v[169:170]
	v_fma_f64 v[247:248], v[169:170], -0.5, v[247:248]
	v_fma_f64 v[169:170], v[169:170], -0.5, v[237:238]
	v_add_f64_e32 v[215:216], v[66:67], v[31:32]
	v_add_f64_e32 v[225:226], v[12:13], v[149:150]
	;; [unrolled: 1-line block ×9, first 2 shown]
	v_fma_f64 v[195:196], v[35:36], s[0:1], v[195:196]
	v_fma_f64 v[203:204], v[149:150], -0.5, v[203:204]
	v_fma_f64 v[207:208], v[35:36], s[20:21], v[207:208]
	v_fma_f64 v[213:214], v[149:150], -0.5, v[213:214]
	v_fma_f64 v[35:36], v[35:36], s[0:1], v[227:228]
	v_add_f64_e32 v[27:28], v[27:28], v[221:222]
	v_fma_f64 v[149:150], v[149:150], -0.5, v[231:232]
	v_fma_f64 v[221:222], v[37:38], s[0:1], v[233:234]
	v_fma_f64 v[231:232], v[177:178], -0.5, v[239:240]
	v_fma_f64 v[233:234], v[37:38], s[20:21], v[245:246]
	v_fma_f64 v[239:240], v[177:178], -0.5, v[249:250]
	v_fma_f64 v[37:38], v[37:38], s[0:1], v[175:176]
	v_fma_f64 v[86:87], v[177:178], -0.5, v[86:87]
	v_fma_f64 v[33:34], v[80:81], s[12:13], v[33:34]
	v_fma_f64 v[80:81], v[98:99], s[14:15], v[114:115]
	v_add_f64_e64 v[185:186], v[185:186], -v[49:50]
	v_fma_f64 v[49:50], v[49:50], s[12:13], v[173:174]
	v_fma_f64 v[100:101], v[100:101], s[14:15], v[179:180]
	v_fma_f64 v[110:111], v[110:111], s[12:13], v[171:172]
	v_fma_f64 v[106:107], v[118:119], s[14:15], v[106:107]
	v_add_f64_e64 v[217:218], v[217:218], -v[45:46]
	v_fma_f64 v[191:192], v[191:192], -0.5, v[219:220]
	v_fma_f64 v[43:44], v[43:44], s[12:13], v[55:56]
	v_fma_f64 v[55:56], v[131:132], s[14:15], v[147:148]
	;; [unrolled: 1-line block ×6, first 2 shown]
	v_add_f64_e32 v[29:30], v[29:30], v[161:162]
	v_fma_f64 v[57:58], v[76:77], s[12:13], v[57:58]
	v_fma_f64 v[76:77], v[151:152], s[14:15], v[253:254]
	v_add_f64_e64 v[201:202], v[201:202], -v[68:69]
	v_fma_f64 v[193:194], v[193:194], -0.5, v[205:206]
	v_fma_f64 v[68:69], v[68:69], s[12:13], v[241:242]
	v_fma_f64 v[114:115], v[165:166], s[14:15], v[247:248]
	v_fma_f64 v[78:79], v[78:79], s[12:13], v[235:236]
	v_fma_f64 v[92:93], v[92:93], s[14:15], v[169:170]
	v_add_f64_e64 v[215:216], v[215:216], -v[23:24]
	v_fma_f64 v[118:119], v[243:244], -0.5, v[225:226]
	v_fma_f64 v[21:22], v[41:42], s[12:13], v[21:22]
	v_fma_f64 v[41:42], v[102:103], s[14:15], v[116:117]
	v_add_f64_e64 v[183:184], v[183:184], -v[39:40]
	v_fma_f64 v[39:40], v[39:40], s[12:13], v[157:158]
	v_fma_f64 v[104:105], v[104:105], s[14:15], v[181:182]
	v_add_f64_e32 v[74:75], v[74:75], v[223:224]
	v_add_f64_e32 v[96:97], v[96:97], v[159:160]
	v_fma_f64 v[108:109], v[108:109], s[12:13], v[155:156]
	v_fma_f64 v[112:113], v[120:121], s[14:15], v[112:113]
	v_add_f64_e64 v[251:252], v[251:252], -v[19:20]
	v_fma_f64 v[142:143], v[237:238], -0.5, v[229:230]
	v_fma_f64 v[23:24], v[23:24], s[12:13], v[207:208]
	v_fma_f64 v[102:103], v[145:146], s[14:15], v[213:214]
	;; [unrolled: 1-line block ×8, first 2 shown]
	v_add_f64_e32 v[16:17], v[16:17], v[25:26]
	v_fma_f64 v[66:67], v[66:67], s[12:13], v[195:196]
	v_fma_f64 v[88:89], v[88:89], s[14:15], v[203:204]
	v_add_f64_e64 v[80:81], v[80:81], -v[33:34]
	v_mul_f64_e32 v[219:220], s[0:1], v[185:186]
	v_fma_f64 v[120:121], v[185:186], s[20:21], v[187:188]
	v_add_f64_e64 v[86:87], v[100:101], -v[49:50]
	v_add_f64_e32 v[27:28], v[62:63], v[27:28]
	v_add_f64_e64 v[62:63], v[106:107], -v[110:111]
	v_mul_f64_e32 v[227:228], s[0:1], v[217:218]
	v_fma_f64 v[72:73], v[72:73], s[12:13], v[221:222]
	v_fma_f64 v[94:95], v[94:95], s[14:15], v[231:232]
	;; [unrolled: 1-line block ×3, first 2 shown]
	v_add_f64_e64 v[55:56], v[55:56], -v[43:44]
	v_add_f64_e64 v[82:83], v[82:83], -v[70:71]
	v_add_f64_e64 v[98:99], v[98:99], -v[45:46]
	v_add_f64_e32 v[29:30], v[64:65], v[29:30]
	v_add_f64_e64 v[76:77], v[76:77], -v[57:58]
	v_mul_f64_e32 v[131:132], s[0:1], v[201:202]
	v_fma_f64 v[64:65], v[201:202], s[20:21], v[193:194]
	v_add_f64_e64 v[100:101], v[114:115], -v[68:69]
	v_add_f64_e64 v[92:93], v[92:93], -v[78:79]
	v_add_f64_e32 v[2:3], v[2:3], v[90:91]
	v_fma_f64 v[90:91], v[215:216], s[0:1], v[118:119]
	v_add_f64_e32 v[118:119], v[21:22], v[41:42]
	v_mul_f64_e32 v[106:107], s[0:1], v[183:184]
	v_mul_f64_e32 v[114:115], s[0:1], v[215:216]
	v_fma_f64 v[145:146], v[183:184], s[0:1], v[189:190]
	v_add_f64_e32 v[104:105], v[39:40], v[104:105]
	v_add_f64_e32 v[14:15], v[14:15], v[74:75]
	;; [unrolled: 1-line block ×4, first 2 shown]
	v_mul_f64_e32 v[133:134], s[0:1], v[251:252]
	v_fma_f64 v[74:75], v[251:252], s[0:1], v[142:143]
	v_add_f64_e32 v[102:103], v[23:24], v[102:103]
	v_add_f64_e32 v[147:148], v[31:32], v[35:36]
	;; [unrolled: 1-line block ×5, first 2 shown]
	s_barrier_wait -1
	v_add_f64_e32 v[88:89], v[66:67], v[88:89]
	v_fma_f64 v[33:34], v[33:34], 2.0, v[80:81]
	global_inv scope:SCOPE_SE
	v_fma_f64 v[112:113], v[219:220], 2.0, v[120:121]
	v_fma_f64 v[35:36], v[49:50], 2.0, v[86:87]
	v_add_f64_e32 v[6:7], v[6:7], v[27:28]
	v_fma_f64 v[27:28], v[110:111], 2.0, v[62:63]
	v_add_f64_e32 v[94:95], v[72:73], v[94:95]
	v_fma_f64 v[16:17], v[227:228], 2.0, v[25:26]
	v_fma_f64 v[43:44], v[43:44], 2.0, v[55:56]
	;; [unrolled: 1-line block ×4, first 2 shown]
	v_add_f64_e32 v[0:1], v[0:1], v[29:30]
	v_fma_f64 v[47:48], v[57:58], 2.0, v[76:77]
	v_fma_f64 v[29:30], v[131:132], 2.0, v[64:65]
	;; [unrolled: 1-line block ×4, first 2 shown]
	v_add_f64_e32 v[70:71], v[10:11], v[2:3]
	ds_store_2addr_b64 v144, v[4:5], v[62:63] offset1:51
	ds_store_2addr_b64 v144, v[86:87], v[120:121] offset0:102 offset1:153
	ds_store_2addr_b64 v125, v[82:83], v[98:99] offset0:126 offset1:177
	;; [unrolled: 1-line block ×12, first 2 shown]
	ds_store_b64 v59, v[57:58] offset:10608
	v_fma_f64 v[131:132], v[21:22], -2.0, v[118:119]
	v_fma_f64 v[68:69], v[106:107], -2.0, v[145:146]
	;; [unrolled: 1-line block ×4, first 2 shown]
	v_add_f64_e32 v[106:107], v[12:13], v[14:15]
	v_fma_f64 v[108:109], v[108:109], -2.0, v[96:97]
	v_fma_f64 v[110:111], v[133:134], -2.0, v[74:75]
	v_add_f64_e32 v[84:85], v[8:9], v[84:85]
	v_fma_f64 v[133:134], v[23:24], -2.0, v[102:103]
	v_fma_f64 v[151:152], v[31:32], -2.0, v[147:148]
	;; [unrolled: 1-line block ×4, first 2 shown]
	global_wb scope:SCOPE_SE
	s_wait_dscnt 0x0
	s_barrier_signal -1
	s_barrier_wait -1
	global_inv scope:SCOPE_SE
	ds_load_2addr_b64 v[8:11], v144 offset1:51
	ds_load_2addr_b64 v[16:19], v124 offset0:152 offset1:203
	ds_load_2addr_b64 v[24:27], v123 offset0:150 offset1:201
	;; [unrolled: 1-line block ×12, first 2 shown]
	ds_load_b64 v[142:143], v144 offset:10608
	v_fma_f64 v[66:67], v[66:67], -2.0, v[88:89]
	v_fma_f64 v[72:73], v[72:73], -2.0, v[94:95]
	global_wb scope:SCOPE_SE
	s_wait_dscnt 0x0
	s_barrier_signal -1
	s_barrier_wait -1
	global_inv scope:SCOPE_SE
	ds_store_2addr_b64 v144, v[70:71], v[96:97] offset1:51
	ds_store_2addr_b64 v144, v[104:105], v[145:146] offset0:102 offset1:153
	ds_store_2addr_b64 v144, v[118:119], v[131:132] offset0:204 offset1:255
	ds_store_2addr_b64 v124, v[68:69], v[114:115] offset0:50 offset1:101
	ds_store_2addr_b64 v124, v[108:109], v[106:107] offset0:152 offset1:203
	ds_store_2addr_b64 v125, v[88:89], v[102:103] offset0:126 offset1:177
	ds_store_2addr_b64 v126, v[90:91], v[147:148] offset0:100 offset1:151
	ds_store_2addr_b64 v126, v[151:152], v[78:79] offset0:202 offset1:253
	ds_store_2addr_b64 v123, v[133:134], v[66:67] offset0:48 offset1:99
	ds_store_2addr_b64 v135, v[84:85], v[94:95] offset0:150 offset1:201
	ds_store_2addr_b64 v140, v[116:117], v[74:75] offset0:124 offset1:175
	ds_store_2addr_b64 v153, v[149:150], v[157:158] offset0:98 offset1:149
	ds_store_2addr_b64 v153, v[110:111], v[155:156] offset0:200 offset1:251
	ds_store_b64 v59, v[72:73] offset:10608
	global_wb scope:SCOPE_SE
	s_wait_dscnt 0x0
	s_barrier_signal -1
	s_barrier_wait -1
	global_inv scope:SCOPE_SE
	s_and_saveexec_b32 s0, vcc_lo
	s_cbranch_execz .LBB0_21
; %bb.20:
	v_dual_mov_b32 v153, v141 :: v_dual_lshlrev_b32 v140, 1, v54
	v_add_nc_u32_e32 v191, 51, v154
	v_mul_lo_u32 v183, s2, v139
	v_mad_co_u64_u32 v[151:152], null, s2, v138, 0
	s_delay_alu instid0(VALU_DEP_4) | instskip(SKIP_3) | instid1(VALU_DEP_3)
	v_lshlrev_b64_e32 v[54:55], 4, v[140:141]
	v_dual_mov_b32 v185, v141 :: v_dual_lshlrev_b32 v140, 1, v53
	v_dual_mov_b32 v187, v141 :: v_dual_add_nc_u32 v196, 0x132, v154
	v_mul_hi_u32 v199, 0x4763d59d, v191
	v_lshlrev_b64_e32 v[56:57], 4, v[140:141]
	v_add_co_u32 v68, vcc_lo, s8, v54
	s_wait_alu 0xfffd
	v_add_co_ci_u32_e32 v69, vcc_lo, s9, v55, vcc_lo
	v_lshlrev_b32_e32 v140, 1, v52
	s_delay_alu instid0(VALU_DEP_4)
	v_add_co_u32 v62, vcc_lo, s8, v56
	s_wait_alu 0xfffd
	v_add_co_ci_u32_e32 v63, vcc_lo, s9, v57, vcc_lo
	s_clause 0x1
	global_load_b128 v[56:59], v[68:69], off offset:7072
	global_load_b128 v[52:55], v[62:63], off offset:7072
	v_lshlrev_b64_e32 v[64:65], 4, v[140:141]
	v_dual_mov_b32 v189, v141 :: v_dual_lshlrev_b32 v140, 1, v61
	v_mul_hi_u32 v190, 0x4763d59d, v154
	v_add_nc_u32_e32 v192, 0x66, v154
	v_add_nc_u32_e32 v194, 0xcc, v154
	s_delay_alu instid0(VALU_DEP_4) | instskip(SKIP_4) | instid1(VALU_DEP_4)
	v_lshlrev_b64_e32 v[72:73], 4, v[140:141]
	v_add_co_u32 v70, vcc_lo, s8, v64
	s_wait_alu 0xfffd
	v_add_co_ci_u32_e32 v71, vcc_lo, s9, v65, vcc_lo
	v_lshlrev_b32_e32 v140, 1, v60
	v_add_co_u32 v80, vcc_lo, s8, v72
	s_wait_alu 0xfffd
	v_add_co_ci_u32_e32 v81, vcc_lo, s9, v73, vcc_lo
	s_clause 0x5
	global_load_b128 v[64:67], v[62:63], off offset:7088
	global_load_b128 v[60:63], v[70:71], off offset:7088
	;; [unrolled: 1-line block ×6, first 2 shown]
	v_lshlrev_b64_e32 v[84:85], 4, v[140:141]
	v_lshlrev_b32_e32 v140, 1, v130
	v_lshrrev_b32_e32 v199, 7, v199
	v_mul_hi_u32 v200, 0x4763d59d, v192
	v_mul_hi_u32 v202, 0x4763d59d, v194
	v_lshrrev_b32_e32 v190, 7, v190
	v_lshlrev_b64_e32 v[86:87], 4, v[140:141]
	v_lshlrev_b32_e32 v140, 1, v129
	v_add_co_u32 v84, vcc_lo, s8, v84
	s_wait_alu 0xfffd
	v_add_co_ci_u32_e32 v85, vcc_lo, s9, v85, vcc_lo
	s_delay_alu instid0(VALU_DEP_3) | instskip(SKIP_4) | instid1(VALU_DEP_3)
	v_lshlrev_b64_e32 v[88:89], 4, v[140:141]
	v_lshlrev_b32_e32 v140, 1, v122
	v_add_co_u32 v86, vcc_lo, s8, v86
	s_wait_alu 0xfffd
	v_add_co_ci_u32_e32 v87, vcc_lo, s9, v87, vcc_lo
	v_lshlrev_b64_e32 v[90:91], 4, v[140:141]
	v_lshlrev_b32_e32 v140, 1, v154
	v_add_co_u32 v88, vcc_lo, s8, v88
	s_clause 0x3
	global_load_b128 v[112:115], v[84:85], off offset:7088
	global_load_b128 v[124:127], v[84:85], off offset:7072
	global_load_b128 v[96:99], v[86:87], off offset:7088
	global_load_b128 v[104:107], v[86:87], off offset:7072
	s_wait_alu 0xfffd
	v_add_co_ci_u32_e32 v89, vcc_lo, s9, v89, vcc_lo
	v_lshlrev_b64_e32 v[84:85], 4, v[140:141]
	v_add_co_u32 v86, vcc_lo, s8, v90
	s_wait_alu 0xfffd
	v_add_co_ci_u32_e32 v87, vcc_lo, s9, v91, vcc_lo
	s_clause 0x1
	global_load_b128 v[100:103], v[88:89], off offset:7088
	global_load_b128 v[108:111], v[88:89], off offset:7072
	v_add_co_u32 v84, vcc_lo, s8, v84
	s_wait_alu 0xfffd
	v_add_co_ci_u32_e32 v85, vcc_lo, s9, v85, vcc_lo
	s_clause 0x3
	global_load_b128 v[120:123], v[86:87], off offset:7072
	global_load_b128 v[116:119], v[86:87], off offset:7088
	;; [unrolled: 1-line block ×4, first 2 shown]
	v_mul_lo_u32 v140, s3, v138
	v_add_nc_u32_e32 v193, 0x99, v154
	v_mul_u32_u24_e32 v190, 0x1cb, v190
	v_lshrrev_b32_e32 v200, 7, v200
	v_lshrrev_b32_e32 v202, 7, v202
	v_add_nc_u32_e32 v195, 0xff, v154
	v_add_nc_u32_e32 v197, 0x165, v154
	v_mul_hi_u32 v201, 0x4763d59d, v193
	v_add3_u32 v152, v152, v183, v140
	v_mul_hi_u32 v140, 0x4763d59d, v196
	v_add_nc_u32_e32 v198, 0x198, v154
	v_sub_nc_u32_e32 v240, v154, v190
	v_mul_u32_u24_e32 v154, 0x1cb, v200
	v_lshlrev_b64_e32 v[151:152], 4, v[151:152]
	v_mul_u32_u24_e32 v190, 0x1cb, v202
	v_lshlrev_b64_e32 v[136:137], 4, v[136:137]
	v_mul_hi_u32 v203, 0x4763d59d, v195
	v_lshrrev_b32_e32 v210, 7, v140
	v_mul_u32_u24_e32 v140, 0x1cb, v199
	v_mul_hi_u32 v183, 0x4763d59d, v197
	v_add_co_u32 v151, vcc_lo, s6, v151
	v_lshrrev_b32_e32 v201, 7, v201
	s_delay_alu instid0(VALU_DEP_4)
	v_sub_nc_u32_e32 v140, v191, v140
	s_wait_alu 0xfffd
	v_add_co_ci_u32_e32 v208, vcc_lo, s7, v152, vcc_lo
	v_sub_nc_u32_e32 v154, v192, v154
	v_sub_nc_u32_e32 v211, v194, v190
	v_mad_u32_u24 v140, 0x561, v199, v140
	v_add_co_u32 v241, vcc_lo, v151, v136
	v_mul_hi_u32 v204, 0x4763d59d, v198
	v_lshrrev_b32_e32 v206, 7, v203
	s_delay_alu instid0(VALU_DEP_4)
	v_lshlrev_b64_e32 v[190:191], 4, v[140:141]
	v_add_nc_u32_e32 v152, 0x1cb, v140
	v_add_nc_u32_e32 v140, 0x396, v140
	v_lshrrev_b32_e32 v220, 7, v183
	v_mul_u32_u24_e32 v183, 0x1cb, v201
	s_wait_alu 0xfffd
	v_add_co_ci_u32_e32 v242, vcc_lo, v208, v137, vcc_lo
	v_lshlrev_b64_e32 v[136:137], 4, v[152:153]
	v_lshlrev_b64_e32 v[151:152], 4, v[140:141]
	v_mad_u32_u24 v140, 0x561, v200, v154
	v_add_co_u32 v190, vcc_lo, v241, v190
	v_mul_u32_u24_e32 v203, 0x1cb, v206
	v_sub_nc_u32_e32 v209, v193, v183
	s_wait_alu 0xfffd
	v_add_co_ci_u32_e32 v191, vcc_lo, v242, v191, vcc_lo
	v_lshlrev_b64_e32 v[153:154], 4, v[140:141]
	v_add_nc_u32_e32 v183, 0x1cb, v140
	v_add_nc_u32_e32 v140, 0x396, v140
	v_dual_mov_b32 v184, v141 :: v_dual_add_nc_u32 v159, 0x800, v144
	v_add_co_u32 v136, vcc_lo, v241, v136
	v_lshrrev_b32_e32 v238, 7, v204
	v_mul_u32_u24_e32 v204, 0x1cb, v210
	s_wait_alu 0xfffd
	v_add_co_ci_u32_e32 v137, vcc_lo, v242, v137, vcc_lo
	v_add_co_u32 v192, vcc_lo, v241, v151
	v_mul_u32_u24_e32 v205, 0x1cb, v220
	v_sub_nc_u32_e32 v212, v195, v203
	v_lshlrev_b64_e32 v[194:195], 4, v[140:141]
	v_mad_u32_u24 v140, 0x561, v201, v209
	s_wait_alu 0xfffd
	v_add_co_ci_u32_e32 v193, vcc_lo, v242, v152, vcc_lo
	v_lshlrev_b64_e32 v[151:152], 4, v[183:184]
	v_dual_mov_b32 v186, v141 :: v_dual_add_nc_u32 v145, 0x1800, v144
	v_mul_u32_u24_e32 v207, 0x1cb, v238
	v_sub_nc_u32_e32 v213, v196, v204
	v_add_co_u32 v196, vcc_lo, v241, v153
	v_dual_mov_b32 v188, v141 :: v_dual_add_nc_u32 v171, 0x2000, v144
	v_add_nc_u32_e32 v175, 0x1000, v144
	v_add_nc_u32_e32 v179, 0x1c00, v144
	v_sub_nc_u32_e32 v221, v197, v205
	s_wait_alu 0xfffd
	v_add_co_ci_u32_e32 v197, vcc_lo, v242, v154, vcc_lo
	v_lshlrev_b64_e32 v[153:154], 4, v[140:141]
	v_add_nc_u32_e32 v184, 0x1cb, v140
	v_add_nc_u32_e32 v140, 0x396, v140
	ds_load_b64 v[138:139], v144 offset:10608
	ds_load_2addr_b64 v[92:95], v144 offset0:204 offset1:255
	ds_load_2addr_b64 v[84:87], v144 offset0:102 offset1:153
	v_add_nc_u32_e32 v146, 0xc00, v144
	ds_load_2addr_b64 v[88:91], v144 offset1:51
	v_mov_b32_e32 v144, v141
	ds_load_2addr_b64 v[147:150], v159 offset0:152 offset1:203
	ds_load_2addr_b64 v[155:158], v145 offset0:48 offset1:99
	;; [unrolled: 1-line block ×8, first 2 shown]
	v_sub_nc_u32_e32 v239, v198, v207
	v_add_co_u32 v198, vcc_lo, v241, v151
	s_wait_alu 0xfffd
	v_add_co_ci_u32_e32 v199, vcc_lo, v242, v152, vcc_lo
	v_add_co_u32 v194, vcc_lo, v241, v194
	v_lshlrev_b64_e32 v[151:152], 4, v[184:185]
	v_lshlrev_b64_e32 v[183:184], 4, v[140:141]
	v_mad_u32_u24 v140, 0x561, v202, v211
	s_wait_alu 0xfffd
	v_add_co_ci_u32_e32 v195, vcc_lo, v242, v195, vcc_lo
	v_add_co_u32 v200, vcc_lo, v241, v153
	s_wait_alu 0xfffd
	v_add_co_ci_u32_e32 v201, vcc_lo, v242, v154, vcc_lo
	v_lshlrev_b64_e32 v[153:154], 4, v[140:141]
	v_add_nc_u32_e32 v185, 0x1cb, v140
	v_add_nc_u32_e32 v140, 0x396, v140
	v_add_co_u32 v202, vcc_lo, v241, v151
	s_wait_alu 0xfffd
	v_add_co_ci_u32_e32 v203, vcc_lo, v242, v152, vcc_lo
	v_add_co_u32 v183, vcc_lo, v241, v183
	v_lshlrev_b64_e32 v[204:205], 4, v[140:141]
	v_mad_u32_u24 v140, 0x561, v206, v212
	v_lshlrev_b64_e32 v[151:152], 4, v[185:186]
	s_wait_alu 0xfffd
	v_add_co_ci_u32_e32 v184, vcc_lo, v242, v184, vcc_lo
	v_add_co_u32 v206, vcc_lo, v241, v153
	s_wait_alu 0xfffd
	v_add_co_ci_u32_e32 v207, vcc_lo, v242, v154, vcc_lo
	v_lshlrev_b64_e32 v[153:154], 4, v[140:141]
	v_add_nc_u32_e32 v186, 0x1cb, v140
	v_add_nc_u32_e32 v140, 0x396, v140
	v_add_co_u32 v208, vcc_lo, v241, v151
	s_wait_alu 0xfffd
	v_add_co_ci_u32_e32 v209, vcc_lo, v242, v152, vcc_lo
	v_add_co_u32 v204, vcc_lo, v241, v204
	v_lshlrev_b64_e32 v[151:152], 4, v[186:187]
	v_lshlrev_b64_e32 v[185:186], 4, v[140:141]
	v_mad_u32_u24 v140, 0x561, v210, v213
	s_wait_alu 0xfffd
	v_add_co_ci_u32_e32 v205, vcc_lo, v242, v205, vcc_lo
	v_add_co_u32 v210, vcc_lo, v241, v153
	s_wait_alu 0xfffd
	v_add_co_ci_u32_e32 v211, vcc_lo, v242, v154, vcc_lo
	v_lshlrev_b64_e32 v[153:154], 4, v[140:141]
	v_add_nc_u32_e32 v187, 0x1cb, v140
	v_add_nc_u32_e32 v140, 0x396, v140
	v_add_co_u32 v212, vcc_lo, v241, v151
	s_wait_alu 0xfffd
	v_add_co_ci_u32_e32 v213, vcc_lo, v242, v152, vcc_lo
	s_delay_alu instid0(VALU_DEP_3)
	v_lshlrev_b64_e32 v[151:152], 4, v[140:141]
	v_mad_u32_u24 v140, 0x561, v220, v221
	v_add_co_u32 v185, vcc_lo, v241, v185
	s_wait_alu 0xfffd
	v_add_co_ci_u32_e32 v186, vcc_lo, v242, v186, vcc_lo
	v_add_co_u32 v224, vcc_lo, v241, v153
	s_wait_alu 0xfffd
	v_add_co_ci_u32_e32 v225, vcc_lo, v242, v154, vcc_lo
	v_lshlrev_b64_e32 v[226:227], 4, v[140:141]
	s_wait_loadcnt 0x11
	v_mul_f64_e32 v[214:215], v[50:51], v[58:59]
	s_wait_dscnt 0x6
	v_mul_f64_e32 v[58:59], v[157:158], v[58:59]
	s_wait_loadcnt 0x10
	v_mul_f64_e32 v[216:217], v[48:49], v[54:55]
	v_mul_f64_e32 v[218:219], v[155:156], v[54:55]
	v_lshlrev_b64_e32 v[54:55], 4, v[187:188]
	v_add_nc_u32_e32 v188, 0x1cb, v140
	v_add_nc_u32_e32 v140, 0x396, v140
	v_lshlrev_b32_e32 v187, 4, v240
	s_delay_alu instid0(VALU_DEP_4)
	v_add_co_u32 v230, vcc_lo, v241, v54
	s_wait_alu 0xfffd
	v_add_co_ci_u32_e32 v231, vcc_lo, v242, v55, vcc_lo
	v_add_co_u32 v234, vcc_lo, v241, v151
	s_wait_alu 0xfffd
	v_add_co_ci_u32_e32 v235, vcc_lo, v242, v152, vcc_lo
	s_wait_loadcnt 0xf
	v_mul_f64_e32 v[220:221], v[46:47], v[66:67]
	s_wait_dscnt 0x4
	v_mul_f64_e32 v[66:67], v[165:166], v[66:67]
	s_wait_loadcnt 0xe
	v_mul_f64_e32 v[222:223], v[44:45], v[62:63]
	v_mul_f64_e32 v[62:63], v[163:164], v[62:63]
	s_wait_loadcnt 0xd
	v_mul_f64_e32 v[228:229], v[42:43], v[78:79]
	s_wait_dscnt 0x3
	v_mul_f64_e32 v[78:79], v[169:170], v[78:79]
	s_wait_loadcnt 0xa
	v_mul_f64_e32 v[232:233], v[40:41], v[82:83]
	v_mul_f64_e32 v[82:83], v[167:168], v[82:83]
	ds_load_2addr_b64 v[151:154], v146 offset0:126 offset1:177
	v_lshlrev_b64_e32 v[236:237], 4, v[140:141]
	v_mad_u32_u24 v140, 0x561, v238, v239
	v_mul_f64_e32 v[238:239], v[142:143], v[74:75]
	v_mul_f64_e32 v[74:75], v[138:139], v[74:75]
	v_fma_f64 v[157:158], v[56:57], v[157:158], -v[214:215]
	v_fma_f64 v[50:51], v[50:51], v[56:57], v[58:59]
	ds_load_2addr_b64 v[54:57], v145 offset0:150 offset1:201
	v_fma_f64 v[58:59], v[52:53], v[155:156], -v[216:217]
	v_mul_f64_e32 v[145:146], v[38:39], v[70:71]
	v_fma_f64 v[48:49], v[48:49], v[52:53], v[218:219]
	s_wait_dscnt 0x4
	v_mul_f64_e32 v[52:53], v[173:174], v[70:71]
	s_wait_loadcnt 0x8
	v_mul_f64_e32 v[70:71], v[34:35], v[126:127]
	v_mul_f64_e32 v[155:156], v[36:37], v[114:115]
	s_wait_dscnt 0x3
	v_mul_f64_e32 v[126:127], v[177:178], v[126:127]
	v_lshlrev_b64_e32 v[218:219], 4, v[140:141]
	s_wait_loadcnt 0x3
	v_mul_f64_e32 v[214:215], v[20:21], v[122:123]
	v_fma_f64 v[165:166], v[64:65], v[165:166], -v[220:221]
	v_fma_f64 v[46:47], v[46:47], v[64:65], v[66:67]
	v_mul_f64_e32 v[64:65], v[171:172], v[114:115]
	v_mul_f64_e32 v[66:67], v[32:33], v[106:107]
	v_fma_f64 v[114:115], v[60:61], v[163:164], -v[222:223]
	v_mul_f64_e32 v[163:164], v[30:31], v[98:99]
	v_fma_f64 v[44:45], v[44:45], v[60:61], v[62:63]
	s_wait_dscnt 0x2
	v_mul_f64_e32 v[60:61], v[181:182], v[98:99]
	v_mul_f64_e32 v[98:99], v[28:29], v[102:103]
	v_fma_f64 v[169:170], v[76:77], v[169:170], -v[228:229]
	v_fma_f64 v[42:43], v[42:43], v[76:77], v[78:79]
	s_wait_loadcnt 0x2
	v_mul_f64_e32 v[76:77], v[26:27], v[118:119]
	s_wait_loadcnt 0x1
	v_mul_f64_e32 v[78:79], v[18:19], v[134:135]
	v_fma_f64 v[167:168], v[80:81], v[167:168], -v[232:233]
	s_wait_loadcnt 0x0
	v_mul_f64_e32 v[216:217], v[24:25], v[130:131]
	v_mul_f64_e32 v[134:135], v[149:150], v[134:135]
	v_fma_f64 v[40:41], v[40:41], v[80:81], v[82:83]
	s_wait_dscnt 0x0
	v_mul_f64_e32 v[80:81], v[54:55], v[130:131]
	v_mul_f64_e32 v[106:107], v[175:176], v[106:107]
	;; [unrolled: 1-line block ×7, first 2 shown]
	v_fma_f64 v[122:123], v[72:73], v[138:139], -v[238:239]
	v_fma_f64 v[72:73], v[142:143], v[72:73], v[74:75]
	v_fma_f64 v[74:75], v[68:69], v[173:174], -v[145:146]
	v_fma_f64 v[38:39], v[38:39], v[68:69], v[52:53]
	v_fma_f64 v[52:53], v[124:125], v[177:178], -v[70:71]
	v_fma_f64 v[68:69], v[112:113], v[171:172], -v[155:156]
	v_fma_f64 v[34:35], v[34:35], v[124:125], v[126:127]
	v_add_nc_u32_e32 v143, 0x1cb, v140
	v_add_nc_u32_e32 v140, 0x396, v140
	v_add_co_u32 v130, vcc_lo, v241, v187
	v_lshlrev_b64_e32 v[138:139], 4, v[188:189]
	s_wait_alu 0xfffd
	v_add_co_ci_u32_e32 v131, vcc_lo, 0, v242, vcc_lo
	v_add_co_u32 v187, vcc_lo, v241, v226
	v_fma_f64 v[36:37], v[36:37], v[112:113], v[64:65]
	v_fma_f64 v[64:65], v[104:105], v[175:176], -v[66:67]
	v_lshlrev_b64_e32 v[112:113], 4, v[140:141]
	v_fma_f64 v[66:67], v[96:97], v[181:182], -v[163:164]
	s_wait_alu 0xfffd
	v_add_co_ci_u32_e32 v188, vcc_lo, v242, v227, vcc_lo
	v_fma_f64 v[70:71], v[100:101], v[179:180], -v[98:99]
	v_fma_f64 v[98:99], v[120:121], v[151:152], -v[214:215]
	v_add_f64_e32 v[124:125], v[42:43], v[44:45]
	v_fma_f64 v[56:57], v[116:117], v[56:57], -v[76:77]
	v_fma_f64 v[76:77], v[132:133], v[149:150], -v[78:79]
	v_add_co_u32 v138, vcc_lo, v241, v138
	v_fma_f64 v[54:55], v[128:129], v[54:55], -v[216:217]
	v_fma_f64 v[18:19], v[18:19], v[132:133], v[134:135]
	v_fma_f64 v[78:79], v[24:25], v[128:129], v[80:81]
	;; [unrolled: 1-line block ×3, first 2 shown]
	v_fma_f64 v[62:63], v[108:109], v[153:154], -v[62:63]
	v_fma_f64 v[22:23], v[22:23], v[108:109], v[82:83]
	v_fma_f64 v[20:21], v[20:21], v[120:121], v[110:111]
	;; [unrolled: 1-line block ×5, first 2 shown]
	v_lshlrev_b64_e32 v[110:111], 4, v[143:144]
	v_add_f64_e32 v[96:97], v[58:59], v[165:166]
	v_add_f64_e32 v[128:129], v[167:168], v[74:75]
	;; [unrolled: 1-line block ×4, first 2 shown]
	v_add_f64_e64 v[116:117], v[157:158], -v[122:123]
	v_add_f64_e32 v[132:133], v[52:53], v[68:69]
	v_add_f64_e32 v[100:101], v[161:162], v[58:59]
	;; [unrolled: 1-line block ×3, first 2 shown]
	v_add_f64_e64 v[163:164], v[167:168], -v[74:75]
	v_add_f64_e64 v[104:105], v[48:49], -v[46:47]
	v_add_f64_e32 v[102:103], v[48:49], v[46:47]
	v_add_f64_e32 v[48:49], v[14:15], v[48:49]
	v_add_f64_e64 v[106:107], v[42:43], -v[44:45]
	v_add_f64_e32 v[42:43], v[12:13], v[42:43]
	v_add_f64_e32 v[175:176], v[34:35], v[36:37]
	;; [unrolled: 1-line block ×3, first 2 shown]
	v_add_f64_e64 v[118:119], v[58:59], -v[165:166]
	v_add_f64_e32 v[134:135], v[64:65], v[66:67]
	v_add_f64_e32 v[58:59], v[169:170], v[114:115]
	;; [unrolled: 1-line block ×4, first 2 shown]
	s_wait_alu 0xfffd
	v_add_co_ci_u32_e32 v139, vcc_lo, v242, v139, vcc_lo
	v_add_f64_e32 v[142:143], v[98:99], v[56:57]
	v_add_co_u32 v108, vcc_lo, v241, v236
	s_wait_alu 0xfffd
	v_add_co_ci_u32_e32 v109, vcc_lo, v242, v237, vcc_lo
	v_add_f64_e32 v[144:145], v[76:77], v[54:55]
	v_add_f64_e32 v[151:152], v[18:19], v[78:79]
	v_add_f64_e64 v[149:150], v[40:41], -v[38:39]
	v_add_f64_e32 v[140:141], v[62:63], v[70:71]
	v_add_f64_e32 v[40:41], v[2:3], v[40:41]
	;; [unrolled: 1-line block ×9, first 2 shown]
	v_add_f64_e64 v[228:229], v[18:19], -v[78:79]
	v_fma_f64 v[161:162], v[96:97], -0.5, v[161:162]
	v_fma_f64 v[96:97], v[128:129], -0.5, v[94:95]
	v_add_f64_e64 v[60:61], v[50:51], -v[72:73]
	v_add_f64_e32 v[50:51], v[16:17], v[50:51]
	v_add_f64_e64 v[177:178], v[24:25], -v[26:27]
	v_add_f64_e32 v[24:25], v[6:7], v[24:25]
	v_add_f64_e32 v[214:215], v[84:85], v[62:63]
	v_add_f64_e64 v[216:217], v[62:63], -v[70:71]
	v_add_f64_e32 v[62:63], v[4:5], v[22:23]
	v_add_f64_e32 v[226:227], v[10:11], v[20:21]
	;; [unrolled: 1-line block ×3, first 2 shown]
	v_add_f64_e64 v[220:221], v[20:21], -v[32:33]
	v_add_f64_e64 v[98:99], v[98:99], -v[56:57]
	v_fma_f64 v[92:93], v[132:133], -0.5, v[92:93]
	v_fma_f64 v[94:95], v[134:135], -0.5, v[86:87]
	v_add_f64_e64 v[181:182], v[64:65], -v[66:67]
	v_add_f64_e64 v[64:65], v[22:23], -v[28:29]
	;; [unrolled: 1-line block ×4, first 2 shown]
	v_add_f64_e32 v[34:35], v[0:1], v[34:35]
	v_fma_f64 v[86:87], v[142:143], -0.5, v[90:91]
	v_add_f64_e64 v[90:91], v[76:77], -v[54:55]
	v_fma_f64 v[146:147], v[30:31], -0.5, v[147:148]
	v_add_f64_e64 v[52:53], v[52:53], -v[68:69]
	v_fma_f64 v[134:135], v[102:103], -0.5, v[14:15]
	v_fma_f64 v[88:89], v[144:145], -0.5, v[88:89]
	;; [unrolled: 1-line block ×3, first 2 shown]
	v_add_f64_e32 v[8:9], v[48:49], v[46:47]
	v_fma_f64 v[84:85], v[140:141], -0.5, v[84:85]
	v_fma_f64 v[102:103], v[175:176], -0.5, v[0:1]
	;; [unrolled: 1-line block ×4, first 2 shown]
	v_add_f64_e32 v[10:11], v[100:101], v[165:166]
	v_fma_f64 v[100:101], v[167:168], -0.5, v[4:5]
	v_fma_f64 v[48:49], v[173:174], -0.5, v[6:7]
	v_add_f64_e32 v[4:5], v[42:43], v[44:45]
	v_fma_f64 v[44:45], v[155:156], -0.5, v[2:3]
	v_add_f64_e32 v[6:7], v[120:121], v[114:115]
	;; [unrolled: 2-line block ×4, first 2 shown]
	v_add_f64_e32 v[42:43], v[232:233], v[54:55]
	v_add_f64_e32 v[40:41], v[236:237], v[78:79]
	;; [unrolled: 1-line block ×11, first 2 shown]
	v_fma_f64 v[62:63], v[177:178], s[4:5], v[94:95]
	v_fma_f64 v[54:55], v[149:150], s[4:5], v[96:97]
	;; [unrolled: 1-line block ×4, first 2 shown]
	v_add_f64_e32 v[0:1], v[34:35], v[36:37]
	v_fma_f64 v[82:83], v[220:221], s[10:11], v[86:87]
	v_fma_f64 v[70:71], v[220:221], s[4:5], v[86:87]
	;; [unrolled: 1-line block ×32, first 2 shown]
	v_add_co_u32 v114, vcc_lo, v241, v218
	s_wait_alu 0xfffd
	v_add_co_ci_u32_e32 v115, vcc_lo, v242, v219, vcc_lo
	v_add_co_u32 v110, vcc_lo, v241, v110
	s_wait_alu 0xfffd
	v_add_co_ci_u32_e32 v111, vcc_lo, v242, v111, vcc_lo
	;; [unrolled: 3-line block ×3, first 2 shown]
	s_clause 0x1a
	global_store_b128 v[130:131], v[40:43], off
	global_store_b128 v[130:131], v[76:79], off offset:7344
	global_store_b128 v[130:131], v[72:75], off offset:14688
	global_store_b128 v[190:191], v[28:31], off
	global_store_b128 v[136:137], v[80:83], off
	;; [unrolled: 1-line block ×24, first 2 shown]
.LBB0_21:
	s_nop 0
	s_sendmsg sendmsg(MSG_DEALLOC_VGPRS)
	s_endpgm
	.section	.rodata,"a",@progbits
	.p2align	6, 0x0
	.amdhsa_kernel fft_rtc_back_len1377_factors_17_3_9_3_wgs_51_tpt_51_halfLds_dp_op_CI_CI_unitstride_sbrr_dirReg
		.amdhsa_group_segment_fixed_size 0
		.amdhsa_private_segment_fixed_size 292
		.amdhsa_kernarg_size 104
		.amdhsa_user_sgpr_count 2
		.amdhsa_user_sgpr_dispatch_ptr 0
		.amdhsa_user_sgpr_queue_ptr 0
		.amdhsa_user_sgpr_kernarg_segment_ptr 1
		.amdhsa_user_sgpr_dispatch_id 0
		.amdhsa_user_sgpr_private_segment_size 0
		.amdhsa_wavefront_size32 1
		.amdhsa_uses_dynamic_stack 0
		.amdhsa_enable_private_segment 1
		.amdhsa_system_sgpr_workgroup_id_x 1
		.amdhsa_system_sgpr_workgroup_id_y 0
		.amdhsa_system_sgpr_workgroup_id_z 0
		.amdhsa_system_sgpr_workgroup_info 0
		.amdhsa_system_vgpr_workitem_id 0
		.amdhsa_next_free_vgpr 256
		.amdhsa_next_free_sgpr 58
		.amdhsa_reserve_vcc 1
		.amdhsa_float_round_mode_32 0
		.amdhsa_float_round_mode_16_64 0
		.amdhsa_float_denorm_mode_32 3
		.amdhsa_float_denorm_mode_16_64 3
		.amdhsa_fp16_overflow 0
		.amdhsa_workgroup_processor_mode 1
		.amdhsa_memory_ordered 1
		.amdhsa_forward_progress 0
		.amdhsa_round_robin_scheduling 0
		.amdhsa_exception_fp_ieee_invalid_op 0
		.amdhsa_exception_fp_denorm_src 0
		.amdhsa_exception_fp_ieee_div_zero 0
		.amdhsa_exception_fp_ieee_overflow 0
		.amdhsa_exception_fp_ieee_underflow 0
		.amdhsa_exception_fp_ieee_inexact 0
		.amdhsa_exception_int_div_zero 0
	.end_amdhsa_kernel
	.text
.Lfunc_end0:
	.size	fft_rtc_back_len1377_factors_17_3_9_3_wgs_51_tpt_51_halfLds_dp_op_CI_CI_unitstride_sbrr_dirReg, .Lfunc_end0-fft_rtc_back_len1377_factors_17_3_9_3_wgs_51_tpt_51_halfLds_dp_op_CI_CI_unitstride_sbrr_dirReg
                                        ; -- End function
	.section	.AMDGPU.csdata,"",@progbits
; Kernel info:
; codeLenInByte = 23004
; NumSgprs: 60
; NumVgprs: 256
; ScratchSize: 292
; MemoryBound: 1
; FloatMode: 240
; IeeeMode: 1
; LDSByteSize: 0 bytes/workgroup (compile time only)
; SGPRBlocks: 7
; VGPRBlocks: 31
; NumSGPRsForWavesPerEU: 60
; NumVGPRsForWavesPerEU: 256
; Occupancy: 5
; WaveLimiterHint : 1
; COMPUTE_PGM_RSRC2:SCRATCH_EN: 1
; COMPUTE_PGM_RSRC2:USER_SGPR: 2
; COMPUTE_PGM_RSRC2:TRAP_HANDLER: 0
; COMPUTE_PGM_RSRC2:TGID_X_EN: 1
; COMPUTE_PGM_RSRC2:TGID_Y_EN: 0
; COMPUTE_PGM_RSRC2:TGID_Z_EN: 0
; COMPUTE_PGM_RSRC2:TIDIG_COMP_CNT: 0
	.text
	.p2alignl 7, 3214868480
	.fill 96, 4, 3214868480
	.type	__hip_cuid_d6767040a20bce90,@object ; @__hip_cuid_d6767040a20bce90
	.section	.bss,"aw",@nobits
	.globl	__hip_cuid_d6767040a20bce90
__hip_cuid_d6767040a20bce90:
	.byte	0                               ; 0x0
	.size	__hip_cuid_d6767040a20bce90, 1

	.ident	"AMD clang version 19.0.0git (https://github.com/RadeonOpenCompute/llvm-project roc-6.4.0 25133 c7fe45cf4b819c5991fe208aaa96edf142730f1d)"
	.section	".note.GNU-stack","",@progbits
	.addrsig
	.addrsig_sym __hip_cuid_d6767040a20bce90
	.amdgpu_metadata
---
amdhsa.kernels:
  - .args:
      - .actual_access:  read_only
        .address_space:  global
        .offset:         0
        .size:           8
        .value_kind:     global_buffer
      - .offset:         8
        .size:           8
        .value_kind:     by_value
      - .actual_access:  read_only
        .address_space:  global
        .offset:         16
        .size:           8
        .value_kind:     global_buffer
      - .actual_access:  read_only
        .address_space:  global
        .offset:         24
        .size:           8
        .value_kind:     global_buffer
      - .actual_access:  read_only
        .address_space:  global
        .offset:         32
        .size:           8
        .value_kind:     global_buffer
      - .offset:         40
        .size:           8
        .value_kind:     by_value
      - .actual_access:  read_only
        .address_space:  global
        .offset:         48
        .size:           8
        .value_kind:     global_buffer
      - .actual_access:  read_only
        .address_space:  global
        .offset:         56
        .size:           8
        .value_kind:     global_buffer
      - .offset:         64
        .size:           4
        .value_kind:     by_value
      - .actual_access:  read_only
        .address_space:  global
        .offset:         72
        .size:           8
        .value_kind:     global_buffer
      - .actual_access:  read_only
        .address_space:  global
        .offset:         80
        .size:           8
        .value_kind:     global_buffer
      - .actual_access:  read_only
        .address_space:  global
        .offset:         88
        .size:           8
        .value_kind:     global_buffer
      - .actual_access:  write_only
        .address_space:  global
        .offset:         96
        .size:           8
        .value_kind:     global_buffer
    .group_segment_fixed_size: 0
    .kernarg_segment_align: 8
    .kernarg_segment_size: 104
    .language:       OpenCL C
    .language_version:
      - 2
      - 0
    .max_flat_workgroup_size: 51
    .name:           fft_rtc_back_len1377_factors_17_3_9_3_wgs_51_tpt_51_halfLds_dp_op_CI_CI_unitstride_sbrr_dirReg
    .private_segment_fixed_size: 292
    .sgpr_count:     60
    .sgpr_spill_count: 0
    .symbol:         fft_rtc_back_len1377_factors_17_3_9_3_wgs_51_tpt_51_halfLds_dp_op_CI_CI_unitstride_sbrr_dirReg.kd
    .uniform_work_group_size: 1
    .uses_dynamic_stack: false
    .vgpr_count:     256
    .vgpr_spill_count: 200
    .wavefront_size: 32
    .workgroup_processor_mode: 1
amdhsa.target:   amdgcn-amd-amdhsa--gfx1201
amdhsa.version:
  - 1
  - 2
...

	.end_amdgpu_metadata
